;; amdgpu-corpus repo=ROCm/rocFFT kind=compiled arch=gfx906 opt=O3
	.text
	.amdgcn_target "amdgcn-amd-amdhsa--gfx906"
	.amdhsa_code_object_version 6
	.protected	bluestein_single_fwd_len702_dim1_half_op_CI_CI ; -- Begin function bluestein_single_fwd_len702_dim1_half_op_CI_CI
	.globl	bluestein_single_fwd_len702_dim1_half_op_CI_CI
	.p2align	8
	.type	bluestein_single_fwd_len702_dim1_half_op_CI_CI,@function
bluestein_single_fwd_len702_dim1_half_op_CI_CI: ; @bluestein_single_fwd_len702_dim1_half_op_CI_CI
; %bb.0:
	s_load_dwordx4 s[0:3], s[4:5], 0x28
	v_mul_u32_u24_e32 v1, 0x231, v0
	v_add_u32_sdwa v4, s6, v1 dst_sel:DWORD dst_unused:UNUSED_PAD src0_sel:DWORD src1_sel:WORD_1
	v_mov_b32_e32 v5, 0
	s_waitcnt lgkmcnt(0)
	v_cmp_gt_u64_e32 vcc, s[0:1], v[4:5]
	s_and_saveexec_b64 s[0:1], vcc
	s_cbranch_execz .LBB0_15
; %bb.1:
	s_load_dwordx2 s[6:7], s[4:5], 0x0
	s_load_dwordx2 s[12:13], s[4:5], 0x38
	s_movk_i32 s0, 0x75
	v_mul_lo_u16_sdwa v1, v1, s0 dst_sel:DWORD dst_unused:UNUSED_PAD src0_sel:WORD_1 src1_sel:DWORD
	v_sub_u16_e32 v26, v0, v1
	v_cmp_gt_u16_e64 s[0:1], 54, v26
	v_lshlrev_b32_e32 v25, 2, v26
	s_and_saveexec_b64 s[14:15], s[0:1]
	s_cbranch_execz .LBB0_3
; %bb.2:
	s_load_dwordx2 s[8:9], s[4:5], 0x18
	s_waitcnt lgkmcnt(0)
	s_load_dwordx4 s[8:11], s[8:9], 0x0
	s_waitcnt lgkmcnt(0)
	v_mad_u64_u32 v[0:1], s[16:17], s10, v4, 0
	v_mad_u64_u32 v[2:3], s[16:17], s8, v26, 0
	;; [unrolled: 1-line block ×4, first 2 shown]
	v_mov_b32_e32 v1, v5
	v_lshlrev_b64 v[0:1], 2, v[0:1]
	v_mov_b32_e32 v3, v6
	v_mov_b32_e32 v7, s3
	v_lshlrev_b64 v[2:3], 2, v[2:3]
	v_add_co_u32_e32 v0, vcc, s2, v0
	v_addc_co_u32_e32 v1, vcc, v7, v1, vcc
	v_add_co_u32_e32 v0, vcc, v0, v2
	s_mul_i32 s3, s9, 0xd8
	s_mul_hi_u32 s9, s8, 0xd8
	v_addc_co_u32_e32 v1, vcc, v1, v3, vcc
	s_mul_i32 s2, s8, 0xd8
	s_add_i32 s3, s9, s3
	global_load_dword v2, v[0:1], off
	global_load_dword v3, v25, s[6:7]
	global_load_dword v5, v25, s[6:7] offset:216
	global_load_dword v6, v25, s[6:7] offset:432
	v_mov_b32_e32 v7, s3
	v_add_co_u32_e32 v0, vcc, s2, v0
	v_addc_co_u32_e32 v1, vcc, v1, v7, vcc
	global_load_dword v7, v[0:1], off
	v_mov_b32_e32 v8, s3
	v_add_co_u32_e32 v0, vcc, s2, v0
	v_addc_co_u32_e32 v1, vcc, v1, v8, vcc
	global_load_dword v8, v[0:1], off
	v_mov_b32_e32 v9, s3
	v_add_co_u32_e32 v0, vcc, s2, v0
	v_addc_co_u32_e32 v1, vcc, v1, v9, vcc
	global_load_dword v9, v[0:1], off
	global_load_dword v10, v25, s[6:7] offset:648
	global_load_dword v11, v25, s[6:7] offset:864
	;; [unrolled: 1-line block ×5, first 2 shown]
	v_mov_b32_e32 v15, s3
	v_add_co_u32_e32 v0, vcc, s2, v0
	v_addc_co_u32_e32 v1, vcc, v1, v15, vcc
	global_load_dword v15, v[0:1], off
	v_mov_b32_e32 v16, s3
	v_add_co_u32_e32 v0, vcc, s2, v0
	v_addc_co_u32_e32 v1, vcc, v1, v16, vcc
	global_load_dword v16, v[0:1], off
	;; [unrolled: 4-line block ×4, first 2 shown]
	global_load_dword v19, v25, s[6:7] offset:1728
	global_load_dword v20, v25, s[6:7] offset:1944
	;; [unrolled: 1-line block ×3, first 2 shown]
	v_mov_b32_e32 v22, s3
	v_add_co_u32_e32 v0, vcc, s2, v0
	v_addc_co_u32_e32 v1, vcc, v1, v22, vcc
	global_load_dword v22, v[0:1], off
	v_mov_b32_e32 v23, s3
	v_add_co_u32_e32 v0, vcc, s2, v0
	v_addc_co_u32_e32 v1, vcc, v1, v23, vcc
	global_load_dword v23, v[0:1], off
	;; [unrolled: 4-line block ×4, first 2 shown]
	global_load_dword v30, v25, s[6:7] offset:2376
	v_mov_b32_e32 v31, s3
	v_add_co_u32_e32 v0, vcc, s2, v0
	v_addc_co_u32_e32 v1, vcc, v1, v31, vcc
	global_load_dword v31, v[0:1], off
	global_load_dword v32, v25, s[6:7] offset:2592
	s_waitcnt vmcnt(25)
	v_lshrrev_b32_e32 v28, 16, v2
	s_waitcnt vmcnt(24)
	v_mul_f16_sdwa v0, v3, v28 dst_sel:DWORD dst_unused:UNUSED_PAD src0_sel:WORD_1 src1_sel:DWORD
	v_mul_f16_sdwa v29, v3, v2 dst_sel:DWORD dst_unused:UNUSED_PAD src0_sel:WORD_1 src1_sel:DWORD
	v_fma_f16 v0, v3, v2, v0
	v_fma_f16 v29, v3, v28, -v29
	v_pack_b32_f16 v0, v0, v29
	s_waitcnt vmcnt(21)
	v_lshrrev_b32_e32 v1, 16, v7
	v_mul_f16_sdwa v2, v5, v7 dst_sel:DWORD dst_unused:UNUSED_PAD src0_sel:WORD_1 src1_sel:DWORD
	v_fma_f16 v2, v5, v1, -v2
	v_mul_f16_sdwa v1, v5, v1 dst_sel:DWORD dst_unused:UNUSED_PAD src0_sel:WORD_1 src1_sel:DWORD
	v_fma_f16 v1, v5, v7, v1
	v_pack_b32_f16 v1, v1, v2
	ds_write2_b32 v25, v0, v1 offset1:54
	s_waitcnt vmcnt(20)
	v_lshrrev_b32_e32 v0, 16, v8
	v_mul_f16_sdwa v1, v6, v0 dst_sel:DWORD dst_unused:UNUSED_PAD src0_sel:WORD_1 src1_sel:DWORD
	v_mul_f16_sdwa v2, v6, v8 dst_sel:DWORD dst_unused:UNUSED_PAD src0_sel:WORD_1 src1_sel:DWORD
	v_fma_f16 v1, v6, v8, v1
	v_fma_f16 v0, v6, v0, -v2
	v_pack_b32_f16 v0, v1, v0
	s_waitcnt vmcnt(19)
	v_lshrrev_b32_e32 v1, 16, v9
	s_waitcnt vmcnt(18)
	v_mul_f16_sdwa v2, v10, v1 dst_sel:DWORD dst_unused:UNUSED_PAD src0_sel:WORD_1 src1_sel:DWORD
	v_mul_f16_sdwa v3, v10, v9 dst_sel:DWORD dst_unused:UNUSED_PAD src0_sel:WORD_1 src1_sel:DWORD
	v_fma_f16 v2, v10, v9, v2
	v_fma_f16 v1, v10, v1, -v3
	v_pack_b32_f16 v1, v2, v1
	ds_write2_b32 v25, v0, v1 offset0:108 offset1:162
	s_waitcnt vmcnt(13)
	v_lshrrev_b32_e32 v0, 16, v15
	v_mul_f16_sdwa v1, v11, v0 dst_sel:DWORD dst_unused:UNUSED_PAD src0_sel:WORD_1 src1_sel:DWORD
	v_mul_f16_sdwa v2, v11, v15 dst_sel:DWORD dst_unused:UNUSED_PAD src0_sel:WORD_1 src1_sel:DWORD
	v_fma_f16 v1, v11, v15, v1
	v_fma_f16 v0, v11, v0, -v2
	v_pack_b32_f16 v0, v1, v0
	s_waitcnt vmcnt(12)
	v_lshrrev_b32_e32 v1, 16, v16
	v_mul_f16_sdwa v2, v12, v1 dst_sel:DWORD dst_unused:UNUSED_PAD src0_sel:WORD_1 src1_sel:DWORD
	v_mul_f16_sdwa v3, v12, v16 dst_sel:DWORD dst_unused:UNUSED_PAD src0_sel:WORD_1 src1_sel:DWORD
	v_fma_f16 v2, v12, v16, v2
	v_fma_f16 v1, v12, v1, -v3
	v_pack_b32_f16 v1, v2, v1
	v_add_u32_e32 v2, 0x200, v25
	ds_write2_b32 v2, v0, v1 offset0:88 offset1:142
	s_waitcnt vmcnt(11)
	v_lshrrev_b32_e32 v0, 16, v17
	v_mul_f16_sdwa v1, v13, v0 dst_sel:DWORD dst_unused:UNUSED_PAD src0_sel:WORD_1 src1_sel:DWORD
	v_mul_f16_sdwa v2, v13, v17 dst_sel:DWORD dst_unused:UNUSED_PAD src0_sel:WORD_1 src1_sel:DWORD
	v_fma_f16 v1, v13, v17, v1
	v_fma_f16 v0, v13, v0, -v2
	v_pack_b32_f16 v0, v1, v0
	s_waitcnt vmcnt(10)
	v_lshrrev_b32_e32 v1, 16, v18
	v_mul_f16_sdwa v2, v14, v1 dst_sel:DWORD dst_unused:UNUSED_PAD src0_sel:WORD_1 src1_sel:DWORD
	v_mul_f16_sdwa v3, v14, v18 dst_sel:DWORD dst_unused:UNUSED_PAD src0_sel:WORD_1 src1_sel:DWORD
	v_fma_f16 v2, v14, v18, v2
	v_fma_f16 v1, v14, v1, -v3
	v_pack_b32_f16 v1, v2, v1
	v_add_u32_e32 v2, 0x400, v25
	ds_write2_b32 v2, v0, v1 offset0:68 offset1:122
	s_waitcnt vmcnt(6)
	v_lshrrev_b32_e32 v0, 16, v22
	v_mul_f16_sdwa v1, v19, v0 dst_sel:DWORD dst_unused:UNUSED_PAD src0_sel:WORD_1 src1_sel:DWORD
	v_mul_f16_sdwa v3, v19, v22 dst_sel:DWORD dst_unused:UNUSED_PAD src0_sel:WORD_1 src1_sel:DWORD
	v_fma_f16 v1, v19, v22, v1
	v_fma_f16 v0, v19, v0, -v3
	v_pack_b32_f16 v0, v1, v0
	s_waitcnt vmcnt(5)
	v_lshrrev_b32_e32 v1, 16, v23
	v_mul_f16_sdwa v3, v20, v1 dst_sel:DWORD dst_unused:UNUSED_PAD src0_sel:WORD_1 src1_sel:DWORD
	v_mul_f16_sdwa v5, v20, v23 dst_sel:DWORD dst_unused:UNUSED_PAD src0_sel:WORD_1 src1_sel:DWORD
	v_fma_f16 v3, v20, v23, v3
	v_fma_f16 v1, v20, v1, -v5
	v_pack_b32_f16 v1, v3, v1
	ds_write2_b32 v2, v0, v1 offset0:176 offset1:230
	s_waitcnt vmcnt(4)
	v_lshrrev_b32_e32 v0, 16, v24
	v_mul_f16_sdwa v1, v21, v0 dst_sel:DWORD dst_unused:UNUSED_PAD src0_sel:WORD_1 src1_sel:DWORD
	v_mul_f16_sdwa v2, v21, v24 dst_sel:DWORD dst_unused:UNUSED_PAD src0_sel:WORD_1 src1_sel:DWORD
	v_fma_f16 v1, v21, v24, v1
	v_fma_f16 v0, v21, v0, -v2
	v_pack_b32_f16 v0, v1, v0
	s_waitcnt vmcnt(3)
	v_lshrrev_b32_e32 v1, 16, v27
	s_waitcnt vmcnt(2)
	v_mul_f16_sdwa v2, v30, v1 dst_sel:DWORD dst_unused:UNUSED_PAD src0_sel:WORD_1 src1_sel:DWORD
	v_mul_f16_sdwa v3, v30, v27 dst_sel:DWORD dst_unused:UNUSED_PAD src0_sel:WORD_1 src1_sel:DWORD
	v_fma_f16 v2, v30, v27, v2
	v_fma_f16 v1, v30, v1, -v3
	v_pack_b32_f16 v1, v2, v1
	v_add_u32_e32 v2, 0x800, v25
	ds_write2_b32 v2, v0, v1 offset0:28 offset1:82
	s_waitcnt vmcnt(1)
	v_lshrrev_b32_e32 v0, 16, v31
	s_waitcnt vmcnt(0)
	v_mul_f16_sdwa v1, v32, v0 dst_sel:DWORD dst_unused:UNUSED_PAD src0_sel:WORD_1 src1_sel:DWORD
	v_mul_f16_sdwa v2, v32, v31 dst_sel:DWORD dst_unused:UNUSED_PAD src0_sel:WORD_1 src1_sel:DWORD
	v_fma_f16 v1, v32, v31, v1
	v_fma_f16 v0, v32, v0, -v2
	v_pack_b32_f16 v0, v1, v0
	ds_write_b32 v25, v0 offset:2592
.LBB0_3:
	s_or_b64 exec, exec, s[14:15]
	s_load_dwordx2 s[8:9], s[4:5], 0x20
	s_load_dwordx2 s[2:3], s[4:5], 0x8
	v_mov_b32_e32 v0, 0
	s_waitcnt lgkmcnt(0)
	s_barrier
	s_waitcnt lgkmcnt(0)
                                        ; implicit-def: $vgpr3
                                        ; implicit-def: $vgpr13
                                        ; implicit-def: $vgpr10
                                        ; implicit-def: $vgpr15
                                        ; implicit-def: $vgpr12
                                        ; implicit-def: $vgpr17
	s_and_saveexec_b64 s[4:5], s[0:1]
	s_cbranch_execz .LBB0_5
; %bb.4:
	v_add_u32_e32 v2, 0x200, v25
	v_add_u32_e32 v5, 0x400, v25
	ds_read2_b32 v[0:1], v25 offset1:54
	ds_read2_b32 v[11:12], v25 offset0:108 offset1:162
	ds_read2_b32 v[9:10], v2 offset0:88 offset1:142
	;; [unrolled: 1-line block ×4, first 2 shown]
	v_add_u32_e32 v5, 0x800, v25
	ds_read2_b32 v[15:16], v5 offset0:28 offset1:82
	ds_read_b32 v17, v25 offset:2592
.LBB0_5:
	s_or_b64 exec, exec, s[4:5]
	s_waitcnt lgkmcnt(0)
	v_pk_add_f16 v23, v1, v17 neg_lo:[0,1] neg_hi:[0,1]
	s_mov_b32 s17, 0xba95
	v_pk_add_f16 v22, v17, v1
	s_movk_i32 s5, 0x388b
	v_mul_f16_sdwa v18, v23, s17 dst_sel:DWORD dst_unused:UNUSED_PAD src0_sel:WORD_1 src1_sel:DWORD
	s_mov_b32 s16, 0xbbf1
	s_mov_b32 s15, 0xbb7b
	v_pk_add_f16 v28, v11, v16 neg_lo:[0,1] neg_hi:[0,1]
	v_fma_f16 v5, v22, s5, v18
	s_movk_i32 s4, 0x2fb7
	v_mul_f16_sdwa v20, v23, s16 dst_sel:DWORD dst_unused:UNUSED_PAD src0_sel:WORD_1 src1_sel:DWORD
	s_mov_b32 s11, 0xb5ac
	s_mov_b32 s14, 0xb3a8
	v_pk_add_f16 v37, v16, v11
	v_mul_f16_sdwa v19, v28, s15 dst_sel:DWORD dst_unused:UNUSED_PAD src0_sel:WORD_1 src1_sel:DWORD
	v_pk_add_f16 v29, v12, v15 neg_lo:[0,1] neg_hi:[0,1]
	v_fma_f16 v6, v22, s4, v20
	s_mov_b32 s10, 0xbbc4
	v_fma_f16 v7, v37, s11, v19
	v_mul_f16_sdwa v21, v28, s14 dst_sel:DWORD dst_unused:UNUSED_PAD src0_sel:WORD_1 src1_sel:DWORD
	v_pk_add_f16 v27, v15, v12
	v_add_f16_e32 v5, v5, v0
	v_mul_f16_sdwa v24, v29, s14 dst_sel:DWORD dst_unused:UNUSED_PAD src0_sel:WORD_1 src1_sel:DWORD
	s_movk_i32 s18, 0x3b7b
	v_fma_f16 v8, v37, s10, v21
	v_add_f16_e32 v5, v7, v5
	v_add_f16_e32 v6, v6, v0
	v_fma_f16 v7, v27, s10, v24
	v_mul_f16_sdwa v38, v29, s18 dst_sel:DWORD dst_unused:UNUSED_PAD src0_sel:WORD_1 src1_sel:DWORD
	s_movk_i32 s20, 0x394e
	v_pk_add_f16 v30, v9, v14 neg_lo:[0,1] neg_hi:[0,1]
	v_add_f16_e32 v6, v8, v6
	v_add_f16_e32 v5, v7, v5
	v_fma_f16 v7, v27, s11, v38
	s_mov_b32 s18, 0xb9fd
	v_pk_add_f16 v44, v14, v9
	v_mul_f16_sdwa v36, v30, s20 dst_sel:DWORD dst_unused:UNUSED_PAD src0_sel:WORD_1 src1_sel:DWORD
	s_movk_i32 s21, 0x3770
	v_add_f16_e32 v6, v7, v6
	v_fma_f16 v7, v44, s18, v36
	s_movk_i32 s19, 0x3b15
	v_mul_f16_sdwa v40, v30, s21 dst_sel:DWORD dst_unused:UNUSED_PAD src0_sel:WORD_1 src1_sel:DWORD
	s_movk_i32 s22, 0x3bf1
	v_pk_add_f16 v31, v10, v13 neg_lo:[0,1] neg_hi:[0,1]
	v_add_f16_e32 v5, v7, v5
	v_fma_f16 v7, v44, s19, v40
	v_pk_add_f16 v47, v13, v10
	v_mul_f16_sdwa v39, v31, s22 dst_sel:DWORD dst_unused:UNUSED_PAD src0_sel:WORD_1 src1_sel:DWORD
	v_add_f16_e32 v6, v7, v6
	v_fma_f16 v7, v47, s4, v39
	v_mul_f16_sdwa v42, v31, s17 dst_sel:DWORD dst_unused:UNUSED_PAD src0_sel:WORD_1 src1_sel:DWORD
	v_pk_add_f16 v34, v2, v3 neg_lo:[0,1] neg_hi:[0,1]
	v_add_f16_e32 v5, v7, v5
	v_fma_f16 v7, v47, s5, v42
	s_mov_b32 s23, 0xb94e
	v_pk_add_f16 v48, v3, v2
	v_mul_f16_sdwa v41, v34, s21 dst_sel:DWORD dst_unused:UNUSED_PAD src0_sel:WORD_1 src1_sel:DWORD
	v_add_f16_e32 v7, v7, v6
	v_fma_f16 v6, v48, s19, v41
	v_mul_f16_sdwa v43, v34, s23 dst_sel:DWORD dst_unused:UNUSED_PAD src0_sel:WORD_1 src1_sel:DWORD
	v_add_f16_e32 v6, v6, v5
	v_fma_f16 v5, v48, s18, v43
	;; [unrolled: 3-line block ×8, first 2 shown]
	v_mul_f16_sdwa v53, v30, s16 dst_sel:DWORD dst_unused:UNUSED_PAD src0_sel:WORD_1 src1_sel:DWORD
	s_movk_i32 s20, 0x33a8
	v_add_f16_e32 v8, v32, v8
	v_fma_f16 v32, v44, s4, v53
	v_mul_f16_sdwa v65, v30, s20 dst_sel:DWORD dst_unused:UNUSED_PAD src0_sel:WORD_1 src1_sel:DWORD
	v_add_f16_e32 v7, v32, v7
	v_fma_f16 v32, v44, s10, v65
	v_mul_f16_sdwa v55, v31, s20 dst_sel:DWORD dst_unused:UNUSED_PAD src0_sel:WORD_1 src1_sel:DWORD
	;; [unrolled: 3-line block ×3, first 2 shown]
	s_movk_i32 s20, 0x3a95
	v_add_f16_e32 v7, v32, v7
	v_fma_f16 v32, v47, s19, v66
	v_mul_f16_sdwa v57, v34, s20 dst_sel:DWORD dst_unused:UNUSED_PAD src0_sel:WORD_1 src1_sel:DWORD
	v_add_f16_e32 v32, v32, v8
	v_fma_f16 v8, v48, s5, v57
	v_mul_f16_sdwa v68, v34, s15 dst_sel:DWORD dst_unused:UNUSED_PAD src0_sel:WORD_1 src1_sel:DWORD
	s_mov_b32 s20, 0xb770
	v_add_f16_e32 v8, v8, v7
	v_fma_f16 v7, v48, s11, v68
	v_mul_f16_sdwa v46, v23, s20 dst_sel:DWORD dst_unused:UNUSED_PAD src0_sel:WORD_1 src1_sel:DWORD
	v_add_f16_e32 v7, v7, v32
	v_fma_f16 v32, v22, s19, v46
	v_mul_f16_sdwa v45, v28, s17 dst_sel:DWORD dst_unused:UNUSED_PAD src0_sel:WORD_1 src1_sel:DWORD
	v_add_f16_e32 v32, v32, v0
	v_fma_f16 v33, v37, s5, v45
	v_lshrrev_b32_e32 v99, 16, v22
	v_mul_f16_e32 v52, 0xba95, v23
	v_add_f16_e32 v32, v33, v32
	v_fma_f16 v33, v99, s5, -v52
	v_lshrrev_b32_e32 v97, 16, v37
	v_mul_f16_e32 v54, 0xbb7b, v28
	v_add_f16_sdwa v33, v33, v0 dst_sel:DWORD dst_unused:UNUSED_PAD src0_sel:DWORD src1_sel:WORD_1
	v_fma_f16 v35, v97, s11, -v54
	v_mul_f16_e32 v59, 0xbbf1, v23
	v_add_f16_e32 v33, v35, v33
	v_fma_f16 v35, v99, s4, -v59
	v_mul_f16_e32 v60, 0xb3a8, v28
	v_add_f16_sdwa v35, v35, v0 dst_sel:DWORD dst_unused:UNUSED_PAD src0_sel:DWORD src1_sel:WORD_1
	v_fma_f16 v56, v97, s10, -v60
	v_mul_f16_e32 v70, 0xbb7b, v23
	v_add_f16_e32 v35, v56, v35
	v_fma_f16 v56, v99, s11, -v70
	;; [unrolled: 6-line block ×3, first 2 shown]
	v_mul_f16_e32 v88, 0x3bf1, v28
	s_mov_b32 s20, 0xb3a8b770
	v_add_f16_sdwa v56, v56, v0 dst_sel:DWORD dst_unused:UNUSED_PAD src0_sel:DWORD src1_sel:WORD_1
	v_fma_f16 v63, v97, s4, -v88
	s_mov_b32 s17, 0x3b15bbc4
	v_pk_mul_f16 v74, v23, s20
	s_mov_b32 s21, 0x3770ba95
	v_add_f16_e32 v67, v63, v56
	v_pk_fma_f16 v56, v22, s17, v74 op_sel:[0,0,1] op_sel_hi:[1,1,0] neg_lo:[0,0,1] neg_hi:[0,0,1]
	s_mov_b32 s20, 0x388b3b15
	v_pk_mul_f16 v76, v28, s21
	v_mul_f16_e32 v80, 0xb3a8, v23
	v_pk_add_f16 v56, v56, v0
	v_pk_fma_f16 v63, v37, s20, v76 op_sel:[0,0,1] op_sel_hi:[1,1,0] neg_lo:[0,0,1] neg_hi:[0,0,1]
	v_mul_f16_e32 v28, 0x3770, v28
	v_fma_f16 v23, v99, s10, -v80
	v_pk_add_f16 v69, v63, v56
	v_add_f16_sdwa v23, v23, v0 dst_sel:DWORD dst_unused:UNUSED_PAD src0_sel:DWORD src1_sel:WORD_1
	v_fma_f16 v56, v97, s19, -v28
	v_add_f16_e32 v23, v56, v23
	v_mul_f16_sdwa v56, v29, s16 dst_sel:DWORD dst_unused:UNUSED_PAD src0_sel:WORD_1 src1_sel:DWORD
	v_fma_f16 v63, v27, s4, v56
	v_add_f16_e32 v32, v63, v32
	v_lshrrev_b32_e32 v93, 16, v27
	v_mul_f16_e32 v63, 0xb3a8, v29
	v_fma_f16 v72, v93, s10, -v63
	v_mul_f16_e32 v73, 0x3b7b, v29
	v_add_f16_e32 v33, v72, v33
	v_fma_f16 v72, v93, s11, -v73
	v_mul_f16_e32 v78, 0x3770, v29
	v_add_f16_e32 v35, v72, v35
	v_fma_f16 v72, v93, s19, -v78
	v_mul_f16_e32 v94, 0xba95, v29
	s_mov_b32 s21, 0xb94ebbf1
	v_add_f16_e32 v75, v72, v58
	v_fma_f16 v58, v93, s5, -v94
	s_mov_b32 s16, 0x2fb7b9fd
	v_pk_mul_f16 v81, v29, s21
	v_add_f16_e32 v67, v58, v67
	v_pk_fma_f16 v58, v27, s16, v81 op_sel:[0,0,1] op_sel_hi:[1,1,0] neg_lo:[0,0,1] neg_hi:[0,0,1]
	v_mul_f16_e32 v86, 0xb94e, v29
	v_pk_add_f16 v69, v58, v69
	v_fma_f16 v29, v93, s18, -v86
	v_mul_f16_sdwa v58, v30, s15 dst_sel:DWORD dst_unused:UNUSED_PAD src0_sel:WORD_1 src1_sel:DWORD
	v_add_f16_e32 v23, v29, v23
	v_fma_f16 v29, v44, s11, v58
	v_lshrrev_b32_e32 v95, 16, v44
	v_mul_f16_e32 v72, 0x394e, v30
	v_add_f16_e32 v29, v29, v32
	v_fma_f16 v32, v95, s18, -v72
	v_mul_f16_e32 v77, 0x3770, v30
	v_add_f16_e32 v32, v32, v33
	v_fma_f16 v33, v95, s19, -v77
	v_mul_f16_e32 v85, 0xbbf1, v30
	v_add_f16_e32 v33, v33, v35
	v_fma_f16 v35, v95, s4, -v85
	v_mul_f16_e32 v102, 0x33a8, v30
	s_mov_b32 s21, 0x3a95bb7b
	v_add_f16_e32 v35, v35, v75
	v_fma_f16 v75, v95, s10, -v102
	s_mov_b32 s15, 0xb5ac388b
	v_pk_mul_f16 v91, v30, s21
	v_add_f16_e32 v79, v75, v67
	v_pk_fma_f16 v67, v44, s15, v91 op_sel:[0,0,1] op_sel_hi:[1,1,0] neg_lo:[0,0,1] neg_hi:[0,0,1]
	v_mul_f16_e32 v87, 0x3a95, v30
	v_pk_add_f16 v69, v67, v69
	v_fma_f16 v30, v95, s5, -v87
	v_mul_f16_sdwa v67, v31, s23 dst_sel:DWORD dst_unused:UNUSED_PAD src0_sel:WORD_1 src1_sel:DWORD
	v_add_f16_e32 v23, v30, v23
	v_fma_f16 v30, v47, s18, v67
	v_lshrrev_b32_e32 v100, 16, v47
	v_mul_f16_e32 v75, 0x3bf1, v31
	v_add_f16_e32 v29, v30, v29
	v_fma_f16 v30, v100, s4, -v75
	v_mul_f16_e32 v82, 0xba95, v31
	v_add_f16_e32 v30, v30, v32
	v_fma_f16 v32, v100, s5, -v82
	v_mul_f16_e32 v92, 0x33a8, v31
	v_add_f16_e32 v33, v32, v33
	v_fma_f16 v32, v100, s10, -v92
	v_mul_f16_e32 v104, 0x3770, v31
	s_mov_b32 s22, 0xbb7bb94e
	v_add_f16_e32 v35, v32, v35
	v_fma_f16 v32, v100, s19, -v104
	s_mov_b32 s21, 0xb9fdb5ac
	v_pk_mul_f16 v96, v31, s22
	v_add_f16_e32 v83, v32, v79
	v_pk_fma_f16 v32, v47, s21, v96 op_sel:[0,0,1] op_sel_hi:[1,1,0] neg_lo:[0,0,1] neg_hi:[0,0,1]
	v_mul_f16_e32 v106, 0xbb7b, v31
	v_pk_add_f16 v84, v32, v69
	v_fma_f16 v31, v100, s11, -v106
	v_mul_f16_sdwa v69, v34, s14 dst_sel:DWORD dst_unused:UNUSED_PAD src0_sel:WORD_1 src1_sel:DWORD
	v_add_f16_e32 v107, v31, v23
	v_fma_f16 v23, v48, s10, v69
	v_lshrrev_b32_e32 v101, 16, v48
	v_mul_f16_e32 v79, 0x3770, v34
	v_add_f16_e32 v32, v23, v29
	v_fma_f16 v23, v101, s19, -v79
	v_mul_f16_e32 v90, 0xb94e, v34
	v_add_f16_e32 v29, v23, v30
	v_fma_f16 v23, v101, s18, -v90
	v_mul_f16_e32 v98, 0x3a95, v34
	v_add_f16_e32 v31, v23, v33
	;; [unrolled: 3-line block ×3, first 2 shown]
	v_fma_f16 v23, v101, s11, -v105
	s_mov_b32 s11, 0x3bf1b3a8
	v_pk_fma_f16 v35, v22, s17, v74 op_sel:[0,0,1] op_sel_hi:[1,1,0]
	v_pk_mul_f16 v103, v34, s11
	v_pack_b32_f16 v28, v28, v35
	s_mov_b32 s11, 0x5040100
	v_mul_f16_e32 v35, 0x3b15, v97
	v_perm_b32 v35, v0, v35, s11
	v_add_f16_e32 v30, v23, v83
	s_mov_b32 s5, 0xbbc42fb7
	v_pk_add_f16 v28, v28, v35
	v_fma_f16 v35, v99, s10, v80
	v_pk_mul_f16 v83, v37, s20
	s_mov_b32 s10, 0x7060302
	v_pk_fma_f16 v23, v48, s5, v103 op_sel:[0,0,1] op_sel_hi:[1,1,0] neg_lo:[0,0,1] neg_hi:[0,0,1]
	v_pack_b32_f16 v35, v35, v83
	v_perm_b32 v80, v76, v0, s10
	v_pk_add_f16 v23, v23, v84
	v_pk_add_f16 v35, v35, v80
	v_pk_mul_f16 v84, v27, s16
	s_mov_b32 s10, 0xffff
	v_mul_f16_e32 v80, 0xb9fd, v93
	v_pk_add_f16 v28, v35, v28
	v_pack_b32_f16 v35, v86, v84
	v_bfi_b32 v80, s10, v80, v81
	v_pk_add_f16 v35, v35, v80
	v_pk_mul_f16 v86, v44, s15
	v_mul_f16_e32 v80, 0x388b, v95
	v_pk_add_f16 v28, v35, v28
	v_pack_b32_f16 v35, v87, v86
	v_bfi_b32 v80, s10, v80, v91
	v_pk_add_f16 v35, v35, v80
	v_pk_mul_f16 v87, v47, s21
	v_mul_f16_e32 v80, 0xb5ac, v100
	v_pk_add_f16 v28, v35, v28
	v_pack_b32_f16 v35, v106, v87
	v_bfi_b32 v80, s10, v80, v96
	v_pk_add_f16 v35, v35, v80
	v_pk_add_f16 v28, v35, v28
	v_mul_f16_e32 v35, 0x3bf1, v34
	v_mul_f16_e32 v34, 0x2fb7, v101
	v_pk_mul_f16 v80, v48, s5
	v_bfi_b32 v34, s10, v34, v103
	v_pack_b32_f16 v106, v35, v80
	v_pk_add_f16 v34, v106, v34
	v_pk_add_f16 v34, v34, v28
	v_fma_f16 v28, v101, s4, -v35
	v_add_f16_e32 v35, v28, v107
	v_mul_lo_u16_e32 v28, 13, v26
	s_barrier
	s_and_saveexec_b64 s[4:5], s[0:1]
	s_cbranch_execz .LBB0_7
; %bb.6:
	v_mul_f16_e32 v108, 0x388b, v99
	v_mul_f16_e32 v110, 0x2fb7, v99
	;; [unrolled: 1-line block ×8, first 2 shown]
	v_add_f16_e32 v89, v89, v99
	v_mul_f16_e32 v123, 0xbbc4, v93
	v_mul_f16_e32 v125, 0xb5ac, v93
	;; [unrolled: 1-line block ×4, first 2 shown]
	v_add_f16_e32 v88, v88, v97
	v_add_f16_sdwa v89, v89, v0 dst_sel:DWORD dst_unused:UNUSED_PAD src0_sel:DWORD src1_sel:WORD_1
	v_add_f16_e32 v88, v88, v89
	v_add_f16_e32 v93, v94, v93
	;; [unrolled: 1-line block ×3, first 2 shown]
	v_mul_f16_e32 v93, 0xbbc4, v95
	v_add_f16_e32 v93, v102, v93
	v_mul_f16_e32 v113, 0xb9fd, v22
	v_add_f16_e32 v88, v93, v88
	v_mul_f16_e32 v93, 0x3b15, v100
	v_mul_f16_e32 v107, 0x388b, v22
	;; [unrolled: 1-line block ×7, first 2 shown]
	v_add_f16_e32 v93, v104, v93
	v_sub_f16_e32 v61, v113, v61
	v_mul_f16_e32 v109, 0x2fb7, v22
	v_mul_f16_e32 v121, 0x2fb7, v27
	;; [unrolled: 1-line block ×6, first 2 shown]
	v_add_f16_e32 v88, v93, v88
	v_mul_f16_e32 v93, 0xb5ac, v101
	v_sub_f16_e32 v37, v37, v62
	v_add_f16_e32 v61, v61, v0
	v_sub_f16_e32 v18, v107, v18
	v_mul_f16_e32 v97, 0xb5ac, v44
	v_mul_f16_e32 v89, 0xb9fd, v44
	;; [unrolled: 1-line block ×3, first 2 shown]
	v_add_f16_e32 v93, v105, v93
	v_mul_f16_e32 v105, 0x2fb7, v44
	v_mul_f16_e32 v44, 0xbbc4, v44
	v_add_f16_e32 v37, v37, v61
	v_sub_f16_e32 v27, v27, v64
	v_sub_f16_e32 v20, v109, v20
	v_add_f16_e32 v18, v18, v0
	v_sub_f16_e32 v19, v115, v19
	v_add_f16_e32 v88, v93, v88
	v_mul_f16_e32 v93, 0xb9fd, v47
	v_mul_f16_e32 v113, 0x2fb7, v47
	;; [unrolled: 1-line block ×3, first 2 shown]
	v_add_f16_e32 v27, v27, v37
	v_mul_f16_e32 v37, 0xbbc4, v47
	v_mul_f16_e32 v47, 0x3b15, v47
	v_sub_f16_e32 v44, v44, v65
	v_add_f16_e32 v20, v20, v0
	v_sub_f16_e32 v21, v117, v21
	v_add_f16_e32 v18, v19, v18
	;; [unrolled: 2-line block ×5, first 2 shown]
	v_sub_f16_e32 v19, v89, v36
	v_mul_f16_e32 v44, 0x3b15, v48
	v_add_f16_e32 v27, v47, v27
	v_mul_f16_e32 v47, 0xb5ac, v48
	v_add_f16_e32 v20, v21, v20
	v_sub_f16_e32 v21, v102, v40
	v_add_f16_e32 v18, v19, v18
	v_sub_f16_e32 v19, v113, v39
	v_mul_f16_e32 v106, 0x3b15, v22
	v_mul_f16_e32 v111, 0xb5ac, v22
	v_sub_f16_e32 v47, v47, v68
	v_mul_f16_e32 v68, 0xb9fd, v48
	v_pk_mul_f16 v22, v22, s17
	v_add_f16_e32 v20, v21, v20
	v_sub_f16_e32 v21, v61, v42
	v_add_f16_e32 v18, v19, v18
	v_sub_f16_e32 v19, v44, v41
	v_alignbit_b32 v74, v74, v74, 16
	v_sub_f16_e32 v49, v111, v49
	v_add_f16_e32 v20, v21, v20
	v_sub_f16_e32 v21, v68, v43
	v_add_f16_e32 v18, v19, v18
	v_bfi_b32 v19, s10, v46, v22
	v_add_f16_e32 v49, v49, v0
	v_sub_f16_e32 v50, v119, v50
	v_add_f16_e32 v20, v21, v20
	v_add_f16_e32 v21, v52, v108
	v_pk_add_f16 v19, v106, v19 neg_lo:[0,1] neg_hi:[0,1]
	v_pk_add_f16 v22, v74, v22
	v_pk_add_f16 v1, v1, v0
	v_alignbit_b32 v76, v76, v76, 16
	v_add_f16_e32 v49, v50, v49
	v_sub_f16_e32 v50, v126, v51
	v_add_f16_sdwa v21, v21, v0 dst_sel:DWORD dst_unused:UNUSED_PAD src0_sel:DWORD src1_sel:WORD_1
	v_add_f16_e32 v38, v54, v116
	v_bfi_b32 v19, s10, v19, v22
	v_bfi_b32 v22, s10, v45, v83
	v_pk_add_f16 v1, v11, v1
	v_mul_f16_e32 v94, 0xb9fd, v95
	v_add_f16_e32 v49, v50, v49
	v_sub_f16_e32 v50, v105, v53
	v_add_f16_e32 v21, v38, v21
	v_add_f16_e32 v38, v63, v123
	v_pk_add_f16 v22, v114, v22 neg_lo:[0,1] neg_hi:[0,1]
	v_pk_add_f16 v24, v76, v83
	v_pk_add_f16 v1, v12, v1
	v_mul_f16_e32 v62, 0x2fb7, v100
	v_mul_f16_e32 v65, 0xbbc4, v48
	;; [unrolled: 1-line block ×3, first 2 shown]
	v_alignbit_b32 v81, v81, v81, 16
	v_add_f16_e32 v49, v50, v49
	v_sub_f16_e32 v37, v37, v55
	v_add_f16_e32 v21, v38, v21
	v_add_f16_e32 v38, v72, v94
	v_bfi_b32 v22, s10, v22, v24
	v_bfi_b32 v24, s10, v56, v84
	v_pk_add_f16 v1, v9, v1
	v_mul_f16_e32 v66, 0x3b15, v101
	v_add_f16_e32 v37, v37, v49
	v_sub_f16_e32 v48, v48, v57
	v_add_f16_e32 v21, v38, v21
	v_add_f16_e32 v38, v75, v62
	v_pk_add_f16 v24, v121, v24 neg_lo:[0,1] neg_hi:[0,1]
	v_pk_add_f16 v36, v81, v84
	v_pk_add_f16 v1, v10, v1
	v_alignbit_b32 v91, v91, v91, 16
	v_add_f16_e32 v70, v70, v112
	v_add_f16_e32 v37, v48, v37
	;; [unrolled: 1-line block ×5, first 2 shown]
	v_bfi_b32 v24, s10, v24, v36
	v_bfi_b32 v36, s10, v58, v86
	v_pk_add_f16 v1, v2, v1
	v_add_f16_sdwa v70, v70, v0 dst_sel:DWORD dst_unused:UNUSED_PAD src0_sel:DWORD src1_sel:WORD_1
	v_add_f16_sdwa v48, v48, v0 dst_sel:DWORD dst_unused:UNUSED_PAD src0_sel:DWORD src1_sel:WORD_1
	v_add_f16_e32 v49, v60, v118
	v_add_f16_e32 v21, v38, v21
	v_pk_add_f16 v36, v97, v36 neg_lo:[0,1] neg_hi:[0,1]
	v_pk_add_f16 v38, v91, v86
	v_pk_add_f16 v1, v3, v1
	;; [unrolled: 1-line block ×3, first 2 shown]
	v_mul_f16_e32 v104, 0x3b15, v95
	v_alignbit_b32 v96, v96, v96, 16
	v_add_f16_e32 v71, v71, v120
	v_add_f16_e32 v48, v49, v48
	;; [unrolled: 1-line block ×3, first 2 shown]
	v_bfi_b32 v36, s10, v36, v38
	v_bfi_b32 v38, s10, v67, v87
	v_pk_add_f16 v1, v13, v1
	v_pk_add_f16 v0, v22, v0
	v_mul_f16_e32 v95, 0x2fb7, v95
	v_mul_f16_e32 v64, 0x388b, v100
	v_alignbit_b32 v103, v103, v103, 16
	v_add_f16_e32 v70, v71, v70
	v_add_f16_e32 v71, v78, v99
	;; [unrolled: 1-line block ×4, first 2 shown]
	v_pk_add_f16 v38, v93, v38 neg_lo:[0,1] neg_hi:[0,1]
	v_pk_add_f16 v39, v96, v87
	v_pk_add_f16 v1, v14, v1
	;; [unrolled: 1-line block ×3, first 2 shown]
	v_bfi_b32 v2, s10, v69, v80
	v_mul_f16_e32 v100, 0xbbc4, v100
	v_add_f16_e32 v27, v47, v27
	v_mul_f16_e32 v47, 0xb9fd, v101
	v_add_f16_e32 v70, v71, v70
	v_add_f16_e32 v71, v85, v95
	;; [unrolled: 1-line block ×4, first 2 shown]
	v_bfi_b32 v38, s10, v38, v39
	v_pk_add_f16 v1, v15, v1
	v_pk_add_f16 v0, v36, v0
	v_pk_add_f16 v2, v65, v2 neg_lo:[0,1] neg_hi:[0,1]
	v_pk_add_f16 v3, v103, v80
	v_mul_f16_e32 v101, 0x388b, v101
	v_add_f16_e32 v70, v71, v70
	v_add_f16_e32 v71, v92, v100
	;; [unrolled: 1-line block ×4, first 2 shown]
	v_pk_add_f16 v1, v16, v1
	v_pk_add_f16 v0, v38, v0
	v_bfi_b32 v2, s10, v2, v3
	v_add_f16_e32 v70, v71, v70
	v_add_f16_e32 v71, v98, v101
	v_add_f16_e32 v47, v47, v48
	v_lshlrev_b32_e32 v39, 2, v28
	v_pk_add_f16 v1, v17, v1
	v_pk_add_f16 v0, v2, v0
	v_add_f16_e32 v70, v71, v70
	ds_write2_b32 v39, v1, v0 offset1:1
	v_pack_b32_f16 v0, v20, v47
	v_pack_b32_f16 v1, v18, v21
	ds_write2_b32 v39, v1, v0 offset0:2 offset1:3
	v_pack_b32_f16 v0, v27, v88
	v_pack_b32_f16 v1, v37, v70
	ds_write2_b32 v39, v1, v0 offset0:4 offset1:5
	v_perm_b32 v0, v34, v23, s11
	v_alignbit_b32 v1, v35, v34, 16
	ds_write2_b32 v39, v0, v1 offset0:6 offset1:7
	v_perm_b32 v0, v33, v8, s11
	v_perm_b32 v1, v30, v7, s11
	ds_write2_b32 v39, v1, v0 offset0:8 offset1:9
	v_perm_b32 v0, v29, v6, s11
	v_perm_b32 v1, v31, v5, s11
	ds_write2_b32 v39, v1, v0 offset0:10 offset1:11
	v_bfi_b32 v0, s10, v32, v23
	ds_write_b32 v39, v0 offset:48
.LBB0_7:
	s_or_b64 exec, exec, s[4:5]
	s_movk_i32 s4, 0x4f
	v_mul_lo_u16_sdwa v0, v26, s4 dst_sel:DWORD dst_unused:UNUSED_PAD src0_sel:BYTE_0 src1_sel:DWORD
	v_lshrrev_b16_e32 v15, 10, v0
	v_add_co_u32_e32 v19, vcc, 0x75, v26
	v_mul_lo_u16_e32 v0, 13, v15
	v_sub_u16_e32 v0, v26, v0
	v_mul_lo_u16_sdwa v1, v19, s4 dst_sel:DWORD dst_unused:UNUSED_PAD src0_sel:BYTE_0 src1_sel:DWORD
	v_and_b32_e32 v16, 0xff, v0
	v_lshrrev_b16_e32 v17, 10, v1
	v_lshlrev_b32_e32 v0, 3, v16
	v_mul_lo_u16_e32 v1, 13, v17
	s_load_dwordx4 s[8:11], s[8:9], 0x0
	s_waitcnt lgkmcnt(0)
	s_barrier
	global_load_dwordx2 v[11:12], v0, s[2:3]
	v_sub_u16_e32 v0, v19, v1
	v_and_b32_e32 v18, 0xff, v0
	v_lshlrev_b32_e32 v0, 3, v18
	global_load_dwordx2 v[9:10], v0, s[2:3]
	v_mov_b32_e32 v0, 2
	v_lshlrev_b32_sdwa v27, v0, v26 dst_sel:DWORD dst_unused:UNUSED_PAD src0_sel:DWORD src1_sel:WORD_0
	v_add_u32_e32 v24, 0x200, v27
	ds_read2_b32 v[0:1], v27 offset1:117
	v_add_u32_e32 v46, 0x600, v27
	ds_read2_b32 v[2:3], v24 offset0:106 offset1:223
	ds_read2_b32 v[13:14], v46 offset0:84 offset1:201
	v_mul_u32_u24_e32 v17, 39, v17
	v_add_lshl_u32 v36, v17, v18, 2
	v_mul_u32_u24_e32 v15, 39, v15
	s_waitcnt lgkmcnt(1)
	v_lshrrev_b32_e32 v17, 16, v2
	s_waitcnt lgkmcnt(0)
	v_lshrrev_b32_e32 v18, 16, v13
	v_lshrrev_b32_e32 v20, 16, v3
	;; [unrolled: 1-line block ×3, first 2 shown]
	v_add_lshl_u32 v37, v15, v16, 2
	v_lshrrev_b32_e32 v15, 16, v0
	v_lshrrev_b32_e32 v16, 16, v1
	s_movk_i32 s4, 0x3aee
	s_mov_b32 s5, 0xbaee
	s_waitcnt vmcnt(0)
	s_barrier
	s_movk_i32 s14, 0xa5
	v_mul_f16_sdwa v22, v17, v11 dst_sel:DWORD dst_unused:UNUSED_PAD src0_sel:DWORD src1_sel:WORD_1
	v_mul_f16_sdwa v38, v2, v11 dst_sel:DWORD dst_unused:UNUSED_PAD src0_sel:DWORD src1_sel:WORD_1
	v_mul_f16_sdwa v39, v18, v12 dst_sel:DWORD dst_unused:UNUSED_PAD src0_sel:DWORD src1_sel:WORD_1
	v_mul_f16_sdwa v40, v13, v12 dst_sel:DWORD dst_unused:UNUSED_PAD src0_sel:DWORD src1_sel:WORD_1
	v_mul_f16_sdwa v41, v20, v9 dst_sel:DWORD dst_unused:UNUSED_PAD src0_sel:DWORD src1_sel:WORD_1
	v_mul_f16_sdwa v42, v3, v9 dst_sel:DWORD dst_unused:UNUSED_PAD src0_sel:DWORD src1_sel:WORD_1
	v_mul_f16_sdwa v43, v21, v10 dst_sel:DWORD dst_unused:UNUSED_PAD src0_sel:DWORD src1_sel:WORD_1
	v_mul_f16_sdwa v44, v14, v10 dst_sel:DWORD dst_unused:UNUSED_PAD src0_sel:DWORD src1_sel:WORD_1
	v_fma_f16 v2, v2, v11, -v22
	v_fma_f16 v17, v17, v11, v38
	v_fma_f16 v13, v13, v12, -v39
	v_fma_f16 v18, v18, v12, v40
	;; [unrolled: 2-line block ×4, first 2 shown]
	v_add_f16_e32 v38, v2, v13
	v_sub_f16_e32 v39, v17, v18
	v_add_f16_e32 v40, v15, v17
	v_add_f16_e32 v17, v17, v18
	;; [unrolled: 1-line block ×3, first 2 shown]
	v_sub_f16_e32 v2, v2, v13
	v_add_f16_e32 v42, v3, v14
	v_sub_f16_e32 v43, v20, v21
	v_add_f16_e32 v44, v16, v20
	v_add_f16_e32 v20, v20, v21
	v_fma_f16 v0, v38, -0.5, v0
	v_fma_f16 v15, v17, -0.5, v15
	v_add_f16_e32 v41, v1, v3
	v_sub_f16_e32 v3, v3, v14
	v_add_f16_e32 v13, v22, v13
	v_add_f16_e32 v18, v40, v18
	v_fma_f16 v1, v42, -0.5, v1
	v_add_f16_e32 v17, v44, v21
	v_fma_f16 v16, v20, -0.5, v16
	v_fma_f16 v20, v39, s4, v0
	v_fma_f16 v0, v39, s5, v0
	;; [unrolled: 1-line block ×4, first 2 shown]
	v_add_f16_e32 v14, v41, v14
	v_fma_f16 v15, v43, s4, v1
	v_fma_f16 v1, v43, s5, v1
	v_fma_f16 v22, v3, s5, v16
	v_fma_f16 v3, v3, s4, v16
	v_pack_b32_f16 v13, v13, v18
	v_pack_b32_f16 v16, v20, v21
	;; [unrolled: 1-line block ×5, first 2 shown]
	ds_write2_b32 v37, v13, v16 offset1:13
	ds_write_b32 v37, v0 offset:104
	ds_write2_b32 v36, v14, v2 offset1:13
	v_pack_b32_f16 v0, v1, v3
	ds_write_b32 v36, v0 offset:104
	v_mul_lo_u16_sdwa v0, v26, s14 dst_sel:DWORD dst_unused:UNUSED_PAD src0_sel:BYTE_0 src1_sel:DWORD
	v_sub_u16_sdwa v1, v26, v0 dst_sel:DWORD dst_unused:UNUSED_PAD src0_sel:DWORD src1_sel:BYTE_1
	v_lshrrev_b16_e32 v1, 1, v1
	v_and_b32_e32 v1, 0x7f, v1
	v_add_u16_sdwa v0, v1, v0 dst_sel:DWORD dst_unused:UNUSED_PAD src0_sel:DWORD src1_sel:BYTE_1
	v_lshrrev_b16_e32 v0, 5, v0
	v_and_b32_e32 v20, 7, v0
	v_mul_lo_u16_e32 v0, 39, v20
	v_sub_u16_e32 v0, v26, v0
	v_and_b32_e32 v21, 0xff, v0
	v_mad_u64_u32 v[13:14], s[14:15], v21, 20, s[2:3]
	s_waitcnt lgkmcnt(0)
	s_barrier
	global_load_dwordx4 v[0:3], v[13:14], off offset:104
	global_load_dword v38, v[13:14], off offset:120
	ds_read2_b32 v[13:14], v27 offset1:117
	ds_read2_b32 v[15:16], v24 offset0:106 offset1:223
	ds_read2_b32 v[17:18], v46 offset0:84 offset1:201
	s_movk_i32 s14, 0xea
	s_waitcnt lgkmcnt(0)
	v_lshrrev_b32_e32 v39, 16, v14
	v_lshrrev_b32_e32 v41, 16, v16
	;; [unrolled: 1-line block ×6, first 2 shown]
	s_waitcnt vmcnt(0)
	s_barrier
	v_mul_f16_sdwa v45, v14, v0 dst_sel:DWORD dst_unused:UNUSED_PAD src0_sel:DWORD src1_sel:WORD_1
	v_mul_f16_sdwa v48, v15, v1 dst_sel:DWORD dst_unused:UNUSED_PAD src0_sel:DWORD src1_sel:WORD_1
	;; [unrolled: 1-line block ×10, first 2 shown]
	v_fma_f16 v39, v39, v0, v45
	v_fma_f16 v40, v40, v1, v48
	v_fma_f16 v16, v16, v2, -v49
	v_fma_f16 v41, v41, v2, v50
	v_fma_f16 v42, v42, v3, v52
	v_fma_f16 v18, v18, v38, -v53
	v_fma_f16 v43, v43, v38, v54
	v_fma_f16 v14, v14, v0, -v44
	v_fma_f16 v15, v15, v1, -v47
	;; [unrolled: 1-line block ×3, first 2 shown]
	v_sub_f16_e32 v47, v40, v42
	v_add_f16_e32 v48, v22, v40
	v_add_f16_e32 v40, v40, v42
	;; [unrolled: 1-line block ×3, first 2 shown]
	v_sub_f16_e32 v51, v41, v43
	v_add_f16_e32 v52, v39, v41
	v_add_f16_e32 v41, v41, v43
	;; [unrolled: 1-line block ×4, first 2 shown]
	v_sub_f16_e32 v15, v15, v17
	v_add_f16_e32 v49, v14, v16
	v_sub_f16_e32 v16, v16, v18
	v_fma_f16 v22, v40, -0.5, v22
	v_fma_f16 v14, v50, -0.5, v14
	;; [unrolled: 1-line block ×3, first 2 shown]
	v_add_f16_e32 v17, v44, v17
	v_add_f16_e32 v40, v52, v43
	v_fma_f16 v43, v15, s5, v22
	v_fma_f16 v15, v15, s4, v22
	;; [unrolled: 1-line block ×5, first 2 shown]
	v_add_f16_e32 v42, v48, v42
	v_fma_f16 v16, v16, s4, v39
	v_mul_f16_e32 v39, 0x3aee, v44
	v_mul_f16_e32 v48, -0.5, v14
	v_fma_f16 v13, v45, -0.5, v13
	v_add_f16_e32 v18, v49, v18
	v_mul_f16_e32 v49, 0xbaee, v22
	v_fma_f16 v22, v22, 0.5, v39
	v_fma_f16 v39, v16, s4, v48
	v_mul_f16_e32 v16, -0.5, v16
	v_fma_f16 v41, v47, s4, v13
	v_fma_f16 v44, v44, 0.5, v49
	v_fma_f16 v14, v14, s5, v16
	v_fma_f16 v13, v47, s5, v13
	v_add_f16_e32 v45, v17, v18
	v_add_f16_e32 v47, v42, v40
	;; [unrolled: 1-line block ×5, first 2 shown]
	v_sub_f16_e32 v14, v15, v14
	v_mul_u32_u24_sdwa v15, v20, s14 dst_sel:DWORD dst_unused:UNUSED_PAD src0_sel:WORD_0 src1_sel:DWORD
	v_add_f16_e32 v50, v13, v39
	v_sub_f16_e32 v17, v17, v18
	v_sub_f16_e32 v18, v41, v22
	;; [unrolled: 1-line block ×4, first 2 shown]
	v_add_lshl_u32 v39, v15, v21, 2
	v_pack_b32_f16 v15, v45, v47
	v_pack_b32_f16 v20, v48, v49
	v_sub_f16_e32 v40, v43, v44
	ds_write2_b32 v39, v15, v20 offset1:39
	v_pack_b32_f16 v15, v50, v16
	v_pack_b32_f16 v16, v17, v22
	ds_write2_b32 v39, v15, v16 offset0:78 offset1:117
	v_pack_b32_f16 v15, v18, v40
	v_pack_b32_f16 v13, v13, v14
	ds_write2_b32 v39, v15, v13 offset0:156 offset1:195
	v_lshlrev_b32_e32 v13, 3, v26
	v_lshlrev_b32_e32 v15, 3, v19
	s_waitcnt lgkmcnt(0)
	s_barrier
	global_load_dwordx2 v[13:14], v13, s[2:3] offset:884
	s_nop 0
	global_load_dwordx2 v[15:16], v15, s[2:3] offset:884
	ds_read2_b32 v[18:19], v27 offset1:117
	ds_read2_b32 v[20:21], v24 offset0:106 offset1:223
	ds_read2_b32 v[40:41], v46 offset0:84 offset1:201
	s_waitcnt lgkmcnt(2)
	v_lshrrev_b32_e32 v22, 16, v18
	s_waitcnt lgkmcnt(1)
	v_lshrrev_b32_e32 v17, 16, v20
	;; [unrolled: 2-line block ×3, first 2 shown]
	v_lshrrev_b32_e32 v43, 16, v21
	v_lshrrev_b32_e32 v45, 16, v41
	;; [unrolled: 1-line block ×3, first 2 shown]
	s_waitcnt vmcnt(1)
	v_mul_f16_sdwa v47, v17, v13 dst_sel:DWORD dst_unused:UNUSED_PAD src0_sel:DWORD src1_sel:WORD_1
	v_mul_f16_sdwa v48, v20, v13 dst_sel:DWORD dst_unused:UNUSED_PAD src0_sel:DWORD src1_sel:WORD_1
	;; [unrolled: 1-line block ×4, first 2 shown]
	s_waitcnt vmcnt(0)
	v_mul_f16_sdwa v51, v43, v15 dst_sel:DWORD dst_unused:UNUSED_PAD src0_sel:DWORD src1_sel:WORD_1
	v_mul_f16_sdwa v52, v21, v15 dst_sel:DWORD dst_unused:UNUSED_PAD src0_sel:DWORD src1_sel:WORD_1
	;; [unrolled: 1-line block ×4, first 2 shown]
	v_fma_f16 v20, v20, v13, -v47
	v_fma_f16 v17, v17, v13, v48
	v_fma_f16 v40, v40, v14, -v49
	v_fma_f16 v42, v42, v14, v50
	v_fma_f16 v21, v21, v15, -v51
	v_fma_f16 v43, v43, v15, v52
	v_fma_f16 v41, v41, v16, -v53
	v_fma_f16 v45, v45, v16, v54
	v_add_f16_e32 v47, v18, v20
	v_add_f16_e32 v48, v20, v40
	;; [unrolled: 1-line block ×4, first 2 shown]
	v_sub_f16_e32 v52, v20, v40
	v_add_f16_e32 v20, v19, v21
	v_add_f16_e32 v53, v21, v41
	;; [unrolled: 1-line block ×4, first 2 shown]
	v_sub_f16_e32 v49, v17, v42
	v_sub_f16_e32 v54, v43, v45
	;; [unrolled: 1-line block ×3, first 2 shown]
	v_add_f16_e32 v17, v47, v40
	v_fma_f16 v21, v48, -0.5, v18
	v_add_f16_e32 v40, v50, v42
	v_fma_f16 v22, v51, -0.5, v22
	v_add_f16_e32 v20, v20, v41
	v_fma_f16 v47, v53, -0.5, v19
	v_add_f16_e32 v43, v55, v45
	v_fma_f16 v45, v56, -0.5, v44
	v_fma_f16 v18, v49, s4, v21
	v_fma_f16 v19, v49, s5, v21
	;; [unrolled: 1-line block ×7, first 2 shown]
	v_pack_b32_f16 v47, v17, v40
	v_pack_b32_f16 v50, v20, v43
	v_fma_f16 v45, v57, s4, v45
	v_pack_b32_f16 v48, v18, v41
	ds_write2_b32 v27, v47, v50 offset1:117
	v_pack_b32_f16 v47, v21, v44
	v_pack_b32_f16 v49, v19, v42
	ds_write2_b32 v24, v48, v47 offset0:106 offset1:223
	v_pack_b32_f16 v24, v22, v45
	ds_write2_b32 v46, v49, v24 offset0:84 offset1:201
	s_waitcnt lgkmcnt(0)
	s_barrier
	s_and_saveexec_b64 s[2:3], s[0:1]
	s_cbranch_execz .LBB0_9
; %bb.8:
	global_load_dword v24, v25, s[6:7] offset:2808
	s_add_u32 s4, s6, 0xaf8
	s_addc_u32 s5, s7, 0
	global_load_dword v58, v25, s[4:5] offset:216
	global_load_dword v59, v25, s[4:5] offset:432
	;; [unrolled: 1-line block ×10, first 2 shown]
	ds_read_b32 v46, v27
	global_load_dword v71, v25, s[4:5] offset:2376
	global_load_dword v72, v25, s[4:5] offset:2592
	v_add_u32_e32 v68, 0x400, v25
	v_add_u32_e32 v69, 0x600, v25
	;; [unrolled: 1-line block ×3, first 2 shown]
	s_waitcnt lgkmcnt(0)
	v_lshrrev_b32_e32 v47, 16, v46
	s_waitcnt vmcnt(12)
	v_mul_f16_sdwa v48, v47, v24 dst_sel:DWORD dst_unused:UNUSED_PAD src0_sel:DWORD src1_sel:WORD_1
	v_mul_f16_sdwa v49, v46, v24 dst_sel:DWORD dst_unused:UNUSED_PAD src0_sel:DWORD src1_sel:WORD_1
	v_fma_f16 v46, v46, v24, -v48
	v_fma_f16 v24, v47, v24, v49
	v_pack_b32_f16 v24, v46, v24
	ds_write_b32 v27, v24
	ds_read2_b32 v[46:47], v25 offset0:54 offset1:108
	ds_read2_b32 v[48:49], v25 offset0:162 offset1:216
	;; [unrolled: 1-line block ×6, first 2 shown]
	s_waitcnt lgkmcnt(5)
	v_lshrrev_b32_e32 v24, 16, v46
	s_waitcnt vmcnt(11)
	v_mul_f16_sdwa v73, v46, v58 dst_sel:DWORD dst_unused:UNUSED_PAD src0_sel:DWORD src1_sel:WORD_1
	v_lshrrev_b32_e32 v74, 16, v47
	s_waitcnt vmcnt(10)
	v_mul_f16_sdwa v75, v47, v59 dst_sel:DWORD dst_unused:UNUSED_PAD src0_sel:DWORD src1_sel:WORD_1
	s_waitcnt lgkmcnt(4)
	v_lshrrev_b32_e32 v76, 16, v48
	s_waitcnt vmcnt(9)
	v_mul_f16_sdwa v77, v48, v60 dst_sel:DWORD dst_unused:UNUSED_PAD src0_sel:DWORD src1_sel:WORD_1
	v_lshrrev_b32_e32 v78, 16, v49
	s_waitcnt vmcnt(8)
	v_mul_f16_sdwa v79, v49, v61 dst_sel:DWORD dst_unused:UNUSED_PAD src0_sel:DWORD src1_sel:WORD_1
	;; [unrolled: 7-line block ×3, first 2 shown]
	s_waitcnt lgkmcnt(2)
	v_lshrrev_b32_e32 v84, 16, v52
	s_waitcnt vmcnt(5)
	v_mul_f16_sdwa v85, v52, v64 dst_sel:DWORD dst_unused:UNUSED_PAD src0_sel:DWORD src1_sel:WORD_1
	v_lshrrev_b32_e32 v86, 16, v53
	v_mul_f16_sdwa v92, v24, v58 dst_sel:DWORD dst_unused:UNUSED_PAD src0_sel:DWORD src1_sel:WORD_1
	v_fma_f16 v24, v24, v58, v73
	v_mul_f16_sdwa v73, v74, v59 dst_sel:DWORD dst_unused:UNUSED_PAD src0_sel:DWORD src1_sel:WORD_1
	s_waitcnt vmcnt(4)
	v_mul_f16_sdwa v87, v53, v65 dst_sel:DWORD dst_unused:UNUSED_PAD src0_sel:DWORD src1_sel:WORD_1
	s_waitcnt lgkmcnt(1)
	v_lshrrev_b32_e32 v88, 16, v54
	s_waitcnt vmcnt(3)
	v_mul_f16_sdwa v89, v54, v66 dst_sel:DWORD dst_unused:UNUSED_PAD src0_sel:DWORD src1_sel:WORD_1
	v_lshrrev_b32_e32 v90, 16, v55
	v_fma_f16 v74, v74, v59, v75
	v_mul_f16_sdwa v75, v76, v60 dst_sel:DWORD dst_unused:UNUSED_PAD src0_sel:DWORD src1_sel:WORD_1
	v_fma_f16 v76, v76, v60, v77
	v_mul_f16_sdwa v77, v78, v61 dst_sel:DWORD dst_unused:UNUSED_PAD src0_sel:DWORD src1_sel:WORD_1
	;; [unrolled: 2-line block ×6, first 2 shown]
	v_fma_f16 v46, v46, v58, -v92
	v_fma_f16 v47, v47, v59, -v73
	s_waitcnt vmcnt(2)
	v_mul_f16_sdwa v91, v55, v67 dst_sel:DWORD dst_unused:UNUSED_PAD src0_sel:DWORD src1_sel:WORD_1
	v_fma_f16 v86, v86, v65, v87
	v_mul_f16_sdwa v87, v88, v66 dst_sel:DWORD dst_unused:UNUSED_PAD src0_sel:DWORD src1_sel:WORD_1
	v_fma_f16 v88, v88, v66, v89
	v_mul_f16_sdwa v89, v90, v67 dst_sel:DWORD dst_unused:UNUSED_PAD src0_sel:DWORD src1_sel:WORD_1
	v_fma_f16 v48, v48, v60, -v75
	v_fma_f16 v49, v49, v61, -v77
	;; [unrolled: 1-line block ×6, first 2 shown]
	v_pack_b32_f16 v24, v46, v24
	v_pack_b32_f16 v46, v47, v74
	v_fma_f16 v54, v54, v66, -v87
	v_fma_f16 v55, v55, v67, -v89
	v_pack_b32_f16 v47, v48, v76
	v_pack_b32_f16 v48, v49, v78
	;; [unrolled: 1-line block ×6, first 2 shown]
	ds_write2_b32 v25, v24, v46 offset0:54 offset1:108
	ds_write2_b32 v25, v47, v48 offset0:162 offset1:216
	;; [unrolled: 1-line block ×4, first 2 shown]
	v_fma_f16 v24, v90, v67, v91
	v_pack_b32_f16 v53, v54, v88
	v_pack_b32_f16 v24, v55, v24
	ds_write2_b32 v69, v53, v24 offset0:102 offset1:156
	s_waitcnt lgkmcnt(5)
	v_lshrrev_b32_e32 v24, 16, v56
	s_waitcnt vmcnt(1)
	v_mul_f16_sdwa v46, v24, v71 dst_sel:DWORD dst_unused:UNUSED_PAD src0_sel:DWORD src1_sel:WORD_1
	v_mul_f16_sdwa v47, v56, v71 dst_sel:DWORD dst_unused:UNUSED_PAD src0_sel:DWORD src1_sel:WORD_1
	v_fma_f16 v46, v56, v71, -v46
	v_fma_f16 v24, v24, v71, v47
	v_pack_b32_f16 v24, v46, v24
	v_lshrrev_b32_e32 v46, 16, v57
	s_waitcnt vmcnt(0)
	v_mul_f16_sdwa v47, v46, v72 dst_sel:DWORD dst_unused:UNUSED_PAD src0_sel:DWORD src1_sel:WORD_1
	v_mul_f16_sdwa v48, v57, v72 dst_sel:DWORD dst_unused:UNUSED_PAD src0_sel:DWORD src1_sel:WORD_1
	v_fma_f16 v47, v57, v72, -v47
	v_fma_f16 v46, v46, v72, v48
	v_pack_b32_f16 v46, v47, v46
	ds_write2_b32 v70, v24, v46 offset0:82 offset1:136
.LBB0_9:
	s_or_b64 exec, exec, s[2:3]
	v_lshrrev_b32_e32 v24, 16, v34
	s_waitcnt lgkmcnt(0)
	s_barrier
	s_and_saveexec_b64 s[2:3], s[0:1]
	s_cbranch_execz .LBB0_11
; %bb.10:
	v_add_u32_e32 v5, 0x200, v27
	ds_read2_b32 v[17:18], v27 offset1:54
	ds_read2_b32 v[19:20], v27 offset0:108 offset1:162
	ds_read2_b32 v[21:22], v5 offset0:88 offset1:142
	v_add_u32_e32 v5, 0x400, v27
	ds_read2_b32 v[23:24], v5 offset0:68 offset1:122
	ds_read2_b32 v[7:8], v5 offset0:176 offset1:230
	v_add_u32_e32 v5, 0x800, v27
	ds_read2_b32 v[5:6], v5 offset0:28 offset1:82
	ds_read_b32 v32, v27 offset:2592
	s_mov_b32 s4, 0xffff
	s_waitcnt lgkmcnt(6)
	v_lshrrev_b32_e32 v40, 16, v17
	v_lshrrev_b32_e32 v41, 16, v18
	s_waitcnt lgkmcnt(5)
	v_lshrrev_b32_e32 v42, 16, v19
	v_lshrrev_b32_e32 v43, 16, v20
	;; [unrolled: 3-line block ×6, first 2 shown]
	s_waitcnt lgkmcnt(0)
	v_bfi_b32 v23, s4, v23, v32
.LBB0_11:
	s_or_b64 exec, exec, s[2:3]
	s_barrier
	s_and_saveexec_b64 s[2:3], s[0:1]
	s_cbranch_execz .LBB0_13
; %bb.12:
	v_add_f16_sdwa v46, v23, v41 dst_sel:DWORD dst_unused:UNUSED_PAD src0_sel:WORD_1 src1_sel:DWORD
	v_mul_f16_e32 v47, 0xbbc4, v46
	v_sub_f16_e32 v48, v18, v32
	s_movk_i32 s25, 0x33a8
	v_add_f16_e32 v50, v29, v42
	v_fma_f16 v49, v48, s25, v47
	v_mul_f16_e32 v51, 0x3b15, v50
	v_sub_f16_e32 v52, v19, v6
	s_mov_b32 s16, 0xb770
	v_add_f16_e32 v49, v40, v49
	v_fma_f16 v53, v52, s16, v51
	v_add_f16_e32 v49, v53, v49
	v_add_f16_e32 v53, v31, v43
	v_mul_f16_e32 v54, 0xb9fd, v53
	v_sub_f16_e32 v55, v20, v5
	s_movk_i32 s22, 0x394e
	v_fma_f16 v56, v55, s22, v54
	v_add_f16_e32 v49, v56, v49
	v_add_f16_e32 v56, v33, v44
	v_mul_f16_e32 v57, 0x388b, v56
	v_sub_f16_e32 v58, v21, v8
	s_mov_b32 s19, 0xba95
	v_fma_f16 v59, v58, s19, v57
	v_add_f16_e32 v49, v59, v49
	v_add_f16_e32 v59, v30, v45
	v_mul_f16_e32 v60, 0xb5ac, v59
	v_sub_f16_e32 v61, v22, v7
	s_movk_i32 s26, 0x3b7b
	v_fma_f16 v62, v61, s26, v60
	v_add_f16_e32 v49, v62, v49
	v_add_f16_e32 v62, v35, v34
	v_mul_f16_e32 v63, 0x2fb7, v62
	v_sub_f16_e32 v64, v23, v24
	s_mov_b32 s21, 0xbbf1
	v_fma_f16 v65, v64, s21, v63
	v_sub_f16_sdwa v66, v41, v23 dst_sel:DWORD dst_unused:UNUSED_PAD src0_sel:DWORD src1_sel:WORD_1
	s_mov_b32 s4, 0xbbc4
	v_add_f16_e32 v49, v65, v49
	v_add_f16_e32 v65, v32, v18
	v_mul_f16_e32 v67, 0xb3a8, v66
	v_sub_f16_e32 v70, v42, v29
	s_movk_i32 s14, 0x3b15
	v_fma_f16 v68, v65, s4, v67
	v_add_f16_e32 v69, v6, v19
	v_mul_f16_e32 v71, 0x3770, v70
	v_add_f16_e32 v68, v17, v68
	v_fma_f16 v72, v69, s14, v71
	v_sub_f16_e32 v73, v43, v31
	s_mov_b32 s5, 0xb9fd
	v_add_f16_e32 v68, v72, v68
	v_add_f16_e32 v72, v5, v20
	v_mul_f16_e32 v74, 0xb94e, v73
	v_fma_f16 v75, v72, s5, v74
	v_sub_f16_e32 v76, v44, v33
	s_movk_i32 s15, 0x388b
	v_add_f16_e32 v68, v75, v68
	v_add_f16_e32 v75, v8, v21
	v_mul_f16_e32 v77, 0x3a95, v76
	v_fma_f16 v78, v75, s15, v77
	v_sub_f16_e32 v79, v45, v30
	s_mov_b32 s17, 0xb5ac
	v_add_f16_e32 v68, v78, v68
	v_add_f16_e32 v78, v7, v22
	v_mul_f16_e32 v80, 0xbb7b, v79
	v_fma_f16 v81, v78, s17, v80
	v_sub_f16_e32 v82, v34, v35
	s_movk_i32 s18, 0x2fb7
	v_add_f16_e32 v68, v81, v68
	v_add_f16_e32 v81, v24, v23
	v_mul_f16_e32 v83, 0x3bf1, v82
	v_fma_f16 v84, v81, s18, v83
	v_add_f16_e32 v68, v84, v68
	v_mul_f16_e32 v84, 0xb9fd, v46
	v_fma_f16 v85, v48, s22, v84
	v_mul_f16_e32 v86, 0x2fb7, v50
	v_add_f16_e32 v85, v40, v85
	v_fma_f16 v87, v52, s21, v86
	s_movk_i32 s28, 0x3a95
	v_add_f16_e32 v85, v87, v85
	v_mul_f16_e32 v87, 0x388b, v53
	v_fma_f16 v88, v55, s28, v87
	s_mov_b32 s20, 0xb3a8
	v_add_f16_e32 v85, v88, v85
	v_mul_f16_e32 v88, 0xbbc4, v56
	v_fma_f16 v89, v58, s20, v88
	v_add_f16_e32 v18, v18, v17
	v_add_f16_e32 v85, v89, v85
	v_mul_f16_e32 v89, 0x3b15, v59
	v_add_f16_e32 v18, v19, v18
	v_fma_f16 v90, v61, s16, v89
	v_add_f16_e32 v18, v20, v18
	v_add_f16_e32 v85, v90, v85
	v_mul_f16_e32 v90, 0xb5ac, v62
	v_add_f16_e32 v18, v21, v18
	;; [unrolled: 5-line block ×3, first 2 shown]
	v_fma_f16 v92, v65, s5, v91
	v_mul_f16_e32 v93, 0x3bf1, v70
	v_add_f16_e32 v18, v24, v18
	v_add_f16_e32 v92, v17, v92
	v_fma_f16 v94, v69, s18, v93
	v_add_f16_e32 v7, v7, v18
	v_add_f16_e32 v92, v94, v92
	v_mul_f16_e32 v94, 0xba95, v73
	v_add_f16_e32 v7, v8, v7
	v_fma_f16 v95, v72, s15, v94
	v_add_f16_e32 v5, v5, v7
	v_add_f16_e32 v92, v95, v92
	v_mul_f16_e32 v95, 0x33a8, v76
	v_add_f16_e32 v5, v6, v5
	v_add_f16_e32 v6, v41, v40
	v_fma_f16 v96, v75, s4, v95
	v_add_f16_e32 v6, v42, v6
	v_add_f16_e32 v92, v96, v92
	v_mul_f16_e32 v96, 0x3770, v79
	v_add_f16_e32 v6, v43, v6
	v_fma_f16 v97, v78, s14, v96
	v_add_f16_e32 v6, v44, v6
	v_add_f16_e32 v92, v97, v92
	v_mul_f16_e32 v97, 0xbb7b, v82
	;; [unrolled: 5-line block ×3, first 2 shown]
	v_add_f16_e32 v6, v35, v6
	v_fma_f16 v99, v48, s26, v98
	v_mul_f16_e32 v100, 0xb9fd, v50
	v_add_f16_e32 v6, v30, v6
	v_add_f16_e32 v99, v40, v99
	v_fma_f16 v101, v52, s23, v100
	v_add_f16_e32 v6, v33, v6
	v_add_f16_e32 v99, v101, v99
	v_mul_f16_e32 v101, 0x3b15, v53
	v_add_f16_e32 v6, v31, v6
	v_fma_f16 v102, v55, s16, v101
	s_movk_i32 s29, 0x3770
	v_add_f16_e32 v6, v29, v6
	v_fma_f16 v7, v48, s20, v47
	s_movk_i32 s27, 0x3bf1
	v_add_f16_e32 v99, v102, v99
	v_mul_f16_e32 v102, 0x2fb7, v56
	v_add_f16_sdwa v6, v23, v6 dst_sel:DWORD dst_unused:UNUSED_PAD src0_sel:WORD_1 src1_sel:DWORD
	v_add_f16_e32 v7, v40, v7
	v_fma_f16 v23, v52, s29, v51
	v_fma_f16 v103, v58, s27, v102
	v_add_f16_e32 v7, v23, v7
	v_fma_f16 v23, v55, s23, v54
	s_mov_b32 s24, 0xbb7b
	v_add_f16_e32 v99, v103, v99
	v_mul_f16_e32 v103, 0xbbc4, v59
	v_add_f16_e32 v7, v23, v7
	v_fma_f16 v23, v58, s28, v57
	v_fma_f16 v104, v61, s20, v103
	v_add_f16_e32 v7, v23, v7
	v_fma_f16 v23, v61, s24, v60
	v_add_f16_e32 v99, v104, v99
	v_mul_f16_e32 v104, 0x388b, v62
	v_add_f16_e32 v7, v23, v7
	v_fma_f16 v23, v64, s27, v63
	v_fma_f16 v105, v64, s19, v104
	v_add_f16_e32 v7, v23, v7
	v_fma_f16 v23, v65, s4, -v67
	v_add_f16_e32 v99, v105, v99
	v_mul_f16_e32 v105, 0xbb7b, v66
	v_add_f16_e32 v23, v17, v23
	v_fma_f16 v29, v69, s14, -v71
	v_fma_f16 v106, v65, s17, v105
	v_mul_f16_e32 v107, 0x394e, v70
	v_add_f16_e32 v23, v29, v23
	v_fma_f16 v29, v72, s5, -v74
	v_add_f16_e32 v106, v17, v106
	v_fma_f16 v108, v69, s5, v107
	v_add_f16_e32 v23, v29, v23
	v_fma_f16 v29, v75, s15, -v77
	v_add_f16_e32 v106, v108, v106
	v_mul_f16_e32 v108, 0x3770, v73
	v_add_f16_e32 v23, v29, v23
	v_fma_f16 v29, v78, s17, -v80
	v_fma_f16 v109, v72, s14, v108
	v_add_f16_e32 v23, v29, v23
	v_fma_f16 v29, v81, s18, -v83
	v_add_f16_e32 v106, v109, v106
	v_mul_f16_e32 v109, 0xbbf1, v76
	v_add_f16_e32 v23, v29, v23
	v_fma_f16 v29, v48, s23, v84
	v_fma_f16 v110, v75, s18, v109
	v_add_f16_e32 v29, v40, v29
	v_fma_f16 v30, v52, s27, v86
	v_add_f16_e32 v106, v110, v106
	v_mul_f16_e32 v110, 0x33a8, v79
	v_add_f16_e32 v29, v30, v29
	v_fma_f16 v30, v55, s19, v87
	v_fma_f16 v111, v78, s4, v110
	v_add_f16_e32 v29, v30, v29
	v_fma_f16 v30, v58, s25, v88
	;; [unrolled: 7-line block ×3, first 2 shown]
	v_add_f16_e32 v106, v112, v106
	v_mul_f16_e32 v112, 0x2fb7, v46
	v_add_f16_e32 v29, v30, v29
	v_fma_f16 v30, v65, s5, -v91
	v_fma_f16 v113, v48, s27, v112
	v_mul_f16_e32 v114, 0xbbc4, v50
	v_add_f16_e32 v30, v17, v30
	v_fma_f16 v31, v69, s18, -v93
	v_add_f16_e32 v113, v40, v113
	v_fma_f16 v115, v52, s25, v114
	v_add_f16_e32 v30, v31, v30
	v_fma_f16 v31, v72, s15, -v94
	v_add_f16_e32 v113, v115, v113
	v_mul_f16_e32 v115, 0xb5ac, v53
	v_add_f16_e32 v30, v31, v30
	v_fma_f16 v31, v75, s4, -v95
	v_fma_f16 v116, v55, s24, v115
	v_add_f16_e32 v30, v31, v30
	v_fma_f16 v31, v78, s14, -v96
	v_add_f16_e32 v113, v116, v113
	v_mul_f16_e32 v116, 0x3b15, v56
	v_add_f16_e32 v30, v31, v30
	v_fma_f16 v31, v81, s17, -v97
	v_fma_f16 v117, v58, s16, v116
	v_add_f16_e32 v30, v31, v30
	v_fma_f16 v31, v48, s24, v98
	v_add_f16_e32 v113, v117, v113
	v_mul_f16_e32 v117, 0x388b, v59
	v_add_f16_e32 v5, v32, v5
	v_add_f16_e32 v31, v40, v31
	v_fma_f16 v32, v52, s22, v100
	v_fma_f16 v118, v61, s28, v117
	v_add_f16_e32 v31, v32, v31
	v_fma_f16 v32, v55, s29, v101
	v_add_f16_e32 v113, v118, v113
	v_mul_f16_e32 v118, 0xb9fd, v62
	v_add_f16_e32 v31, v32, v31
	v_fma_f16 v32, v58, s21, v102
	v_fma_f16 v119, v64, s22, v118
	v_add_f16_e32 v31, v32, v31
	v_fma_f16 v32, v61, s25, v103
	v_add_f16_e32 v113, v119, v113
	v_mul_f16_e32 v119, 0xbbf1, v66
	v_add_f16_e32 v31, v32, v31
	v_fma_f16 v32, v64, s28, v104
	v_fma_f16 v120, v65, s18, v119
	v_mul_f16_e32 v121, 0xb3a8, v70
	v_add_f16_e32 v31, v32, v31
	v_fma_f16 v32, v65, s17, -v105
	v_add_f16_e32 v120, v17, v120
	v_fma_f16 v122, v69, s4, v121
	v_add_f16_e32 v32, v17, v32
	v_fma_f16 v33, v69, s5, -v107
	v_add_f16_e32 v120, v122, v120
	v_mul_f16_e32 v122, 0x3b7b, v73
	v_add_f16_e32 v32, v33, v32
	v_fma_f16 v33, v72, s14, -v108
	v_fma_f16 v123, v72, s17, v122
	v_add_f16_e32 v32, v33, v32
	v_fma_f16 v33, v75, s18, -v109
	v_add_f16_e32 v120, v123, v120
	v_mul_f16_e32 v123, 0x3770, v76
	v_add_f16_e32 v32, v33, v32
	v_fma_f16 v33, v78, s4, -v110
	v_fma_f16 v124, v75, s14, v123
	v_add_f16_e32 v32, v33, v32
	v_fma_f16 v33, v81, s15, -v111
	v_add_f16_e32 v120, v124, v120
	v_mul_f16_e32 v124, 0xba95, v79
	v_add_f16_e32 v32, v33, v32
	v_fma_f16 v33, v48, s21, v112
	v_fma_f16 v125, v78, s15, v124
	v_add_f16_e32 v33, v40, v33
	v_fma_f16 v34, v52, s20, v114
	v_add_f16_e32 v120, v125, v120
	v_mul_f16_e32 v125, 0xb94e, v82
	v_add_f16_e32 v33, v34, v33
	v_fma_f16 v34, v55, s26, v115
	v_fma_f16 v126, v81, s5, v125
	v_add_f16_e32 v33, v34, v33
	v_fma_f16 v34, v58, s29, v116
	v_add_f16_e32 v120, v126, v120
	v_mul_f16_e32 v126, 0x388b, v46
	v_add_f16_e32 v33, v34, v33
	v_fma_f16 v34, v61, s19, v117
	v_fma_f16 v127, v48, s28, v126
	v_mul_f16_e32 v128, 0xb5ac, v50
	v_add_f16_e32 v33, v34, v33
	v_fma_f16 v34, v64, s23, v118
	v_add_f16_e32 v127, v40, v127
	v_fma_f16 v129, v52, s26, v128
	v_add_f16_e32 v33, v34, v33
	v_fma_f16 v34, v65, s18, -v119
	v_add_f16_e32 v127, v129, v127
	v_mul_f16_e32 v129, 0xbbc4, v53
	v_add_f16_e32 v34, v17, v34
	v_fma_f16 v35, v69, s4, -v121
	v_fma_f16 v130, v55, s25, v129
	v_add_f16_e32 v34, v35, v34
	v_fma_f16 v35, v72, s17, -v122
	v_add_f16_e32 v127, v130, v127
	v_mul_f16_e32 v130, 0xb9fd, v56
	v_add_f16_e32 v34, v35, v34
	v_fma_f16 v35, v75, s14, -v123
	;; [unrolled: 7-line block ×3, first 2 shown]
	v_fma_f16 v132, v61, s21, v131
	v_add_f16_e32 v34, v35, v34
	v_fma_f16 v35, v48, s19, v126
	v_add_f16_e32 v127, v132, v127
	v_mul_f16_e32 v132, 0x3b15, v62
	v_add_f16_e32 v35, v40, v35
	v_fma_f16 v41, v52, s24, v128
	v_fma_f16 v133, v64, s16, v132
	v_add_f16_e32 v35, v41, v35
	v_fma_f16 v41, v55, s20, v129
	v_add_f16_e32 v127, v133, v127
	v_mul_f16_e32 v133, 0xba95, v66
	v_add_f16_e32 v35, v41, v35
	v_fma_f16 v41, v58, s22, v130
	v_fma_f16 v134, v65, s15, v133
	v_mul_f16_e32 v19, 0xbb7b, v70
	v_add_f16_e32 v35, v41, v35
	v_fma_f16 v41, v61, s27, v131
	v_add_f16_e32 v134, v17, v134
	v_fma_f16 v20, v69, s17, v19
	;; [unrolled: 2-line block ×3, first 2 shown]
	v_add_f16_e32 v20, v20, v134
	v_mul_f16_e32 v134, 0xb3a8, v73
	v_add_f16_e32 v35, v41, v35
	v_fma_f16 v41, v65, s15, -v133
	v_fma_f16 v135, v72, s4, v134
	v_mul_f16_e32 v21, 0x394e, v76
	v_add_f16_e32 v41, v17, v41
	v_fma_f16 v19, v69, s17, -v19
	v_add_f16_e32 v20, v135, v20
	v_fma_f16 v22, v75, s5, v21
	v_add_f16_e32 v19, v19, v41
	v_fma_f16 v41, v72, s4, -v134
	v_add_f16_e32 v20, v22, v20
	v_mul_f16_e32 v22, 0x3bf1, v79
	v_add_f16_e32 v19, v41, v19
	v_fma_f16 v21, v75, s5, -v21
	v_mul_f16_e32 v24, 0x3770, v82
	v_add_f16_e32 v19, v21, v19
	v_fma_f16 v21, v78, s18, -v22
	;; [unrolled: 3-line block ×3, first 2 shown]
	v_mul_f16_e32 v50, 0x388b, v50
	v_mul_f16_e32 v66, 0xb770, v66
	v_add_f16_e32 v19, v21, v19
	v_fma_f16 v21, v48, s16, v46
	v_fma_f16 v135, v78, s18, v22
	v_mul_f16_e32 v53, 0x2fb7, v53
	v_fma_f16 v8, v65, s14, v66
	v_mul_f16_e32 v18, 0xba95, v70
	v_add_f16_e32 v21, v40, v21
	v_fma_f16 v22, v52, s19, v50
	v_mul_f16_e32 v56, 0xb5ac, v56
	v_add_f16_e32 v8, v17, v8
	v_fma_f16 v70, v69, s15, v18
	v_add_f16_e32 v21, v22, v21
	v_fma_f16 v22, v55, s21, v53
	v_mul_f16_e32 v59, 0xb9fd, v59
	v_add_f16_e32 v8, v70, v8
	v_mul_f16_e32 v70, 0xbbf1, v73
	v_add_f16_e32 v21, v22, v21
	v_fma_f16 v22, v58, s24, v56
	v_add_f16_e32 v20, v135, v20
	v_fma_f16 v135, v81, s14, v24
	v_mul_f16_e32 v62, 0xbbc4, v62
	v_fma_f16 v73, v72, s18, v70
	v_add_f16_e32 v21, v22, v21
	v_fma_f16 v22, v61, s23, v59
	v_add_f16_e32 v20, v135, v20
	;; [unrolled: 2-line block ×3, first 2 shown]
	v_mul_f16_e32 v73, 0xbb7b, v76
	v_add_f16_e32 v21, v22, v21
	v_fma_f16 v22, v64, s20, v62
	v_add_f16_e32 v135, v40, v135
	v_fma_f16 v136, v52, s28, v50
	v_fma_f16 v76, v75, s17, v73
	v_add_f16_e32 v21, v22, v21
	v_fma_f16 v22, v65, s14, -v66
	v_add_f16_e32 v135, v136, v135
	v_fma_f16 v136, v55, s27, v53
	v_add_f16_e32 v8, v76, v8
	v_mul_f16_e32 v76, 0xb94e, v79
	v_add_f16_e32 v17, v17, v22
	v_fma_f16 v18, v69, s15, -v18
	v_add_f16_e32 v135, v136, v135
	v_fma_f16 v136, v58, s26, v56
	v_fma_f16 v79, v78, s5, v76
	v_add_f16_e32 v17, v18, v17
	v_fma_f16 v18, v72, s18, -v70
	v_add_f16_e32 v135, v136, v135
	v_fma_f16 v136, v61, s22, v59
	v_add_f16_e32 v8, v79, v8
	v_mul_f16_e32 v79, 0xb3a8, v82
	v_add_f16_e32 v17, v18, v17
	v_fma_f16 v18, v75, s17, -v73
	v_add_f16_e32 v135, v136, v135
	v_fma_f16 v136, v64, s25, v62
	v_fma_f16 v82, v81, s4, v79
	v_add_f16_e32 v17, v18, v17
	v_fma_f16 v18, v78, s5, -v76
	v_add_f16_e32 v135, v136, v135
	v_add_f16_e32 v8, v82, v8
	;; [unrolled: 1-line block ×3, first 2 shown]
	v_fma_f16 v18, v81, s4, -v79
	v_add_f16_e32 v17, v18, v17
	v_lshlrev_b32_e32 v18, 2, v28
	v_pack_b32_f16 v8, v8, v135
	v_pack_b32_f16 v5, v5, v6
	ds_write2_b32 v18, v5, v8 offset1:1
	v_pack_b32_f16 v5, v120, v113
	v_pack_b32_f16 v6, v20, v127
	ds_write2_b32 v18, v6, v5 offset0:2 offset1:3
	v_pack_b32_f16 v5, v92, v85
	v_pack_b32_f16 v6, v106, v99
	ds_write2_b32 v18, v6, v5 offset0:4 offset1:5
	;; [unrolled: 3-line block ×5, first 2 shown]
	v_pack_b32_f16 v5, v17, v21
	ds_write_b32 v18, v5 offset:48
.LBB0_13:
	s_or_b64 exec, exec, s[2:3]
	v_add_u32_e32 v19, 0x200, v27
	s_waitcnt lgkmcnt(0)
	s_barrier
	ds_read2_b32 v[7:8], v19 offset0:106 offset1:223
	v_add_u32_e32 v20, 0x600, v27
	ds_read2_b32 v[17:18], v20 offset0:84 offset1:201
	ds_read2_b32 v[5:6], v27 offset1:117
	s_mov_b32 s2, 0xbaee
	s_waitcnt lgkmcnt(2)
	v_lshrrev_b32_e32 v22, 16, v7
	v_mul_f16_sdwa v30, v11, v22 dst_sel:DWORD dst_unused:UNUSED_PAD src0_sel:WORD_1 src1_sel:DWORD
	s_waitcnt lgkmcnt(1)
	v_lshrrev_b32_e32 v23, 16, v17
	v_fma_f16 v30, v11, v7, v30
	v_mul_f16_sdwa v7, v11, v7 dst_sel:DWORD dst_unused:UNUSED_PAD src0_sel:WORD_1 src1_sel:DWORD
	v_fma_f16 v7, v11, v22, -v7
	v_mul_f16_sdwa v11, v12, v23 dst_sel:DWORD dst_unused:UNUSED_PAD src0_sel:WORD_1 src1_sel:DWORD
	v_lshrrev_b32_e32 v28, 16, v8
	v_fma_f16 v11, v12, v17, v11
	v_mul_f16_sdwa v17, v12, v17 dst_sel:DWORD dst_unused:UNUSED_PAD src0_sel:WORD_1 src1_sel:DWORD
	v_fma_f16 v12, v12, v23, -v17
	v_mul_f16_sdwa v17, v9, v28 dst_sel:DWORD dst_unused:UNUSED_PAD src0_sel:WORD_1 src1_sel:DWORD
	;; [unrolled: 5-line block ×3, first 2 shown]
	v_fma_f16 v9, v10, v18, v9
	v_mul_f16_sdwa v18, v10, v18 dst_sel:DWORD dst_unused:UNUSED_PAD src0_sel:WORD_1 src1_sel:DWORD
	v_add_f16_e32 v22, v30, v11
	s_waitcnt lgkmcnt(0)
	v_lshrrev_b32_e32 v21, 16, v5
	v_fma_f16 v10, v10, v29, -v18
	v_add_f16_e32 v18, v5, v30
	v_fma_f16 v5, v22, -0.5, v5
	v_sub_f16_e32 v22, v7, v12
	s_movk_i32 s3, 0x3aee
	v_fma_f16 v23, v22, s2, v5
	v_fma_f16 v5, v22, s3, v5
	v_add_f16_e32 v22, v21, v7
	v_add_f16_e32 v7, v7, v12
	;; [unrolled: 1-line block ×3, first 2 shown]
	v_fma_f16 v7, v7, -0.5, v21
	v_sub_f16_e32 v11, v30, v11
	v_add_f16_e32 v21, v17, v9
	v_lshrrev_b32_e32 v24, 16, v6
	v_add_f16_e32 v22, v22, v12
	v_fma_f16 v12, v11, s3, v7
	v_fma_f16 v7, v11, s2, v7
	v_add_f16_e32 v11, v6, v17
	v_fma_f16 v6, v21, -0.5, v6
	v_sub_f16_e32 v21, v8, v10
	v_fma_f16 v28, v21, s2, v6
	v_fma_f16 v6, v21, s3, v6
	v_add_f16_e32 v21, v24, v8
	v_add_f16_e32 v8, v8, v10
	;; [unrolled: 1-line block ×3, first 2 shown]
	v_fma_f16 v8, v8, -0.5, v24
	v_sub_f16_e32 v9, v17, v9
	v_add_f16_e32 v21, v21, v10
	v_fma_f16 v10, v9, s3, v8
	v_pack_b32_f16 v5, v5, v7
	v_fma_f16 v8, v9, s2, v8
	s_barrier
	v_pack_b32_f16 v9, v18, v22
	v_pack_b32_f16 v12, v23, v12
	ds_write_b32 v37, v5 offset:104
	v_pack_b32_f16 v5, v11, v21
	v_pack_b32_f16 v7, v28, v10
	ds_write2_b32 v37, v9, v12 offset1:13
	ds_write2_b32 v36, v5, v7 offset1:13
	v_pack_b32_f16 v5, v6, v8
	ds_write_b32 v36, v5 offset:104
	s_waitcnt lgkmcnt(0)
	s_barrier
	ds_read2_b32 v[5:6], v27 offset1:117
	ds_read2_b32 v[7:8], v19 offset0:106 offset1:223
	ds_read2_b32 v[9:10], v20 offset0:84 offset1:201
	s_waitcnt lgkmcnt(0)
	s_barrier
	v_lshrrev_b32_e32 v12, 16, v6
	v_mul_f16_sdwa v23, v0, v12 dst_sel:DWORD dst_unused:UNUSED_PAD src0_sel:WORD_1 src1_sel:DWORD
	v_lshrrev_b32_e32 v17, 16, v7
	v_fma_f16 v23, v0, v6, v23
	v_mul_f16_sdwa v6, v0, v6 dst_sel:DWORD dst_unused:UNUSED_PAD src0_sel:WORD_1 src1_sel:DWORD
	v_fma_f16 v0, v0, v12, -v6
	v_mul_f16_sdwa v6, v1, v17 dst_sel:DWORD dst_unused:UNUSED_PAD src0_sel:WORD_1 src1_sel:DWORD
	v_lshrrev_b32_e32 v18, 16, v8
	v_fma_f16 v6, v1, v7, v6
	v_mul_f16_sdwa v7, v1, v7 dst_sel:DWORD dst_unused:UNUSED_PAD src0_sel:WORD_1 src1_sel:DWORD
	v_fma_f16 v1, v1, v17, -v7
	;; [unrolled: 5-line block ×3, first 2 shown]
	v_mul_f16_sdwa v8, v3, v21 dst_sel:DWORD dst_unused:UNUSED_PAD src0_sel:WORD_1 src1_sel:DWORD
	v_fma_f16 v8, v3, v9, v8
	v_mul_f16_sdwa v9, v3, v9 dst_sel:DWORD dst_unused:UNUSED_PAD src0_sel:WORD_1 src1_sel:DWORD
	v_lshrrev_b32_e32 v22, 16, v10
	v_fma_f16 v3, v3, v21, -v9
	v_add_f16_e32 v17, v6, v8
	v_lshrrev_b32_e32 v11, 16, v5
	v_mul_f16_sdwa v9, v38, v22 dst_sel:DWORD dst_unused:UNUSED_PAD src0_sel:WORD_1 src1_sel:DWORD
	v_add_f16_e32 v12, v5, v6
	v_fma_f16 v5, v17, -0.5, v5
	v_sub_f16_e32 v17, v1, v3
	v_fma_f16 v9, v38, v10, v9
	v_mul_f16_sdwa v10, v38, v10 dst_sel:DWORD dst_unused:UNUSED_PAD src0_sel:WORD_1 src1_sel:DWORD
	v_fma_f16 v18, v17, s2, v5
	v_fma_f16 v5, v17, s3, v5
	v_add_f16_e32 v17, v11, v1
	v_fma_f16 v10, v38, v22, -v10
	v_add_f16_e32 v12, v12, v8
	v_add_f16_e32 v17, v17, v3
	v_add_f16_e32 v1, v1, v3
	v_sub_f16_e32 v3, v6, v8
	v_add_f16_e32 v8, v7, v9
	v_fma_f16 v1, v1, -0.5, v11
	v_fma_f16 v8, v8, -0.5, v23
	v_sub_f16_e32 v11, v2, v10
	v_fma_f16 v21, v11, s2, v8
	v_fma_f16 v8, v11, s3, v8
	v_add_f16_e32 v11, v0, v2
	v_add_f16_e32 v2, v2, v10
	v_fma_f16 v0, v2, -0.5, v0
	v_sub_f16_e32 v2, v7, v9
	v_fma_f16 v6, v3, s3, v1
	v_fma_f16 v1, v3, s2, v1
	v_add_f16_e32 v3, v23, v7
	v_fma_f16 v7, v2, s3, v0
	v_add_f16_e32 v3, v3, v9
	v_fma_f16 v0, v2, s2, v0
	v_mul_f16_e32 v9, 0xbaee, v7
	v_mul_f16_e32 v7, 0.5, v7
	v_add_f16_e32 v11, v11, v10
	v_fma_f16 v9, v21, 0.5, v9
	v_mul_f16_e32 v22, 0xbaee, v0
	v_fma_f16 v7, v21, s3, v7
	v_mul_f16_e32 v0, -0.5, v0
	v_add_f16_e32 v2, v12, v3
	v_add_f16_e32 v10, v18, v9
	v_fma_f16 v22, v8, -0.5, v22
	v_add_f16_e32 v24, v17, v11
	v_add_f16_e32 v21, v6, v7
	v_fma_f16 v0, v8, s3, v0
	v_add_f16_e32 v23, v5, v22
	v_add_f16_e32 v8, v1, v0
	v_sub_f16_e32 v3, v12, v3
	v_sub_f16_e32 v11, v17, v11
	;; [unrolled: 1-line block ×3, first 2 shown]
	v_pack_b32_f16 v1, v2, v24
	v_pack_b32_f16 v2, v10, v21
	v_sub_f16_e32 v9, v18, v9
	v_sub_f16_e32 v5, v5, v22
	;; [unrolled: 1-line block ×3, first 2 shown]
	ds_write2_b32 v39, v1, v2 offset1:39
	v_pack_b32_f16 v1, v23, v8
	v_pack_b32_f16 v2, v3, v11
	ds_write2_b32 v39, v1, v2 offset0:78 offset1:117
	v_pack_b32_f16 v1, v9, v6
	v_pack_b32_f16 v0, v5, v0
	ds_write2_b32 v39, v1, v0 offset0:156 offset1:195
	s_waitcnt lgkmcnt(0)
	s_barrier
	ds_read2_b32 v[0:1], v27 offset1:117
	ds_read2_b32 v[2:3], v19 offset0:106 offset1:223
	ds_read2_b32 v[5:6], v20 offset0:84 offset1:201
	s_waitcnt lgkmcnt(2)
	v_lshrrev_b32_e32 v7, 16, v0
	s_waitcnt lgkmcnt(1)
	v_lshrrev_b32_e32 v8, 16, v2
	v_mul_f16_sdwa v17, v13, v8 dst_sel:DWORD dst_unused:UNUSED_PAD src0_sel:WORD_1 src1_sel:DWORD
	s_waitcnt lgkmcnt(0)
	v_lshrrev_b32_e32 v9, 16, v5
	v_fma_f16 v17, v13, v2, v17
	v_mul_f16_sdwa v2, v13, v2 dst_sel:DWORD dst_unused:UNUSED_PAD src0_sel:WORD_1 src1_sel:DWORD
	v_fma_f16 v2, v13, v8, -v2
	v_mul_f16_sdwa v8, v14, v9 dst_sel:DWORD dst_unused:UNUSED_PAD src0_sel:WORD_1 src1_sel:DWORD
	v_lshrrev_b32_e32 v11, 16, v3
	v_fma_f16 v8, v14, v5, v8
	v_mul_f16_sdwa v5, v14, v5 dst_sel:DWORD dst_unused:UNUSED_PAD src0_sel:WORD_1 src1_sel:DWORD
	v_fma_f16 v5, v14, v9, -v5
	v_mul_f16_sdwa v9, v15, v11 dst_sel:DWORD dst_unused:UNUSED_PAD src0_sel:WORD_1 src1_sel:DWORD
	;; [unrolled: 5-line block ×3, first 2 shown]
	v_fma_f16 v11, v16, v6, v11
	v_mul_f16_sdwa v6, v16, v6 dst_sel:DWORD dst_unused:UNUSED_PAD src0_sel:WORD_1 src1_sel:DWORD
	v_add_f16_e32 v13, v17, v8
	v_fma_f16 v6, v16, v12, -v6
	v_add_f16_e32 v12, v0, v17
	v_fma_f16 v0, v13, -0.5, v0
	v_sub_f16_e32 v13, v2, v5
	v_fma_f16 v14, v13, s2, v0
	v_fma_f16 v0, v13, s3, v0
	v_add_f16_e32 v13, v7, v2
	v_add_f16_e32 v2, v2, v5
	;; [unrolled: 1-line block ×4, first 2 shown]
	v_fma_f16 v2, v2, -0.5, v7
	v_sub_f16_e32 v5, v17, v8
	v_add_f16_e32 v8, v9, v11
	v_lshrrev_b32_e32 v10, 16, v1
	v_fma_f16 v7, v5, s3, v2
	v_fma_f16 v2, v5, s2, v2
	v_add_f16_e32 v5, v1, v9
	v_fma_f16 v1, v8, -0.5, v1
	v_sub_f16_e32 v8, v3, v6
	v_fma_f16 v15, v8, s2, v1
	v_fma_f16 v1, v8, s3, v1
	v_add_f16_e32 v8, v10, v3
	v_add_f16_e32 v3, v3, v6
	;; [unrolled: 1-line block ×4, first 2 shown]
	v_fma_f16 v3, v3, -0.5, v10
	v_sub_f16_e32 v6, v9, v11
	v_fma_f16 v9, v6, s3, v3
	v_fma_f16 v3, v6, s2, v3
	v_pack_b32_f16 v6, v12, v13
	v_pack_b32_f16 v0, v0, v2
	;; [unrolled: 1-line block ×4, first 2 shown]
	ds_write2_b32 v27, v6, v2 offset1:117
	v_pack_b32_f16 v2, v15, v9
	v_pack_b32_f16 v1, v1, v3
	ds_write2_b32 v19, v7, v2 offset0:106 offset1:223
	ds_write2_b32 v20, v0, v1 offset0:84 offset1:201
	s_waitcnt lgkmcnt(0)
	s_barrier
	s_and_b64 exec, exec, s[0:1]
	s_cbranch_execz .LBB0_15
; %bb.14:
	global_load_dword v10, v25, s[6:7]
	global_load_dword v9, v25, s[6:7] offset:216
	v_mad_u64_u32 v[2:3], s[0:1], s10, v4, 0
	ds_read_b32 v16, v27
	v_mad_u64_u32 v[5:6], s[0:1], s8, v26, 0
	v_mad_u64_u32 v[3:4], s[0:1], s11, v4, v[3:4]
	s_waitcnt lgkmcnt(0)
	v_lshrrev_b32_e32 v4, 16, v16
	v_mov_b32_e32 v7, 0x7c00
	ds_read2_b32 v[0:1], v25 offset0:54 offset1:108
	v_mad_u64_u32 v[18:19], s[0:1], s9, v26, v[6:7]
	s_mov_b32 s14, 0xc201756d
	s_mov_b32 s15, 0x3f5756ca
	s_movk_i32 s18, 0x1ff
	global_load_dword v11, v25, s[6:7] offset:432
	global_load_dword v12, v25, s[6:7] offset:648
	;; [unrolled: 1-line block ×6, first 2 shown]
	s_movk_i32 s17, 0xffe
	v_mov_b32_e32 v6, v18
	s_movk_i32 s16, 0x40f
	s_mov_b32 s10, 0x8000
	v_lshlrev_b64 v[2:3], 2, v[2:3]
	s_waitcnt vmcnt(7)
	v_mul_f16_sdwa v17, v4, v10 dst_sel:DWORD dst_unused:UNUSED_PAD src0_sel:DWORD src1_sel:WORD_1
	v_fma_f16 v17, v16, v10, v17
	v_mul_f16_sdwa v16, v16, v10 dst_sel:DWORD dst_unused:UNUSED_PAD src0_sel:DWORD src1_sel:WORD_1
	v_cvt_f32_f16_e32 v17, v17
	v_fma_f16 v4, v10, v4, -v16
	v_cvt_f32_f16_e32 v4, v4
	s_waitcnt lgkmcnt(0)
	v_lshrrev_b32_e32 v10, 16, v0
	v_cvt_f64_f32_e32 v[16:17], v17
	v_cvt_f64_f32_e32 v[19:20], v4
	s_waitcnt vmcnt(6)
	v_mul_f16_sdwa v4, v10, v9 dst_sel:DWORD dst_unused:UNUSED_PAD src0_sel:DWORD src1_sel:WORD_1
	v_mul_f64 v[16:17], v[16:17], s[14:15]
	v_fma_f16 v4, v0, v9, v4
	v_mul_f64 v[19:20], v[19:20], s[14:15]
	v_cvt_f32_f16_e32 v4, v4
	v_mul_f16_sdwa v0, v0, v9 dst_sel:DWORD dst_unused:UNUSED_PAD src0_sel:DWORD src1_sel:WORD_1
	v_fma_f16 v0, v9, v10, -v0
	v_cvt_f32_f16_e32 v0, v0
	v_cvt_f64_f32_e32 v[21:22], v4
	v_and_or_b32 v4, v17, s18, v16
	v_cmp_ne_u32_e32 vcc, 0, v4
	v_and_or_b32 v19, v20, s18, v19
	v_lshrrev_b32_e32 v16, 8, v17
	v_bfe_u32 v18, v17, 20, 11
	v_cndmask_b32_e64 v4, 0, 1, vcc
	v_cmp_ne_u32_e32 vcc, 0, v19
	v_lshrrev_b32_e32 v23, 8, v20
	v_bfe_u32 v24, v20, 20, 11
	v_sub_u32_e32 v26, 0x3f1, v18
	v_cndmask_b32_e64 v19, 0, 1, vcc
	v_and_or_b32 v4, v16, s17, v4
	v_sub_u32_e32 v27, 0x3f1, v24
	v_med3_i32 v16, v26, 0, 13
	v_and_or_b32 v19, v23, s17, v19
	v_or_b32_e32 v26, 0x1000, v4
	v_add_u32_e32 v18, 0xfffffc10, v18
	v_med3_i32 v23, v27, 0, 13
	v_cmp_ne_u32_e32 vcc, 0, v4
	v_or_b32_e32 v28, 0x1000, v19
	v_lshrrev_b32_e32 v30, v16, v26
	v_add_u32_e32 v24, 0xfffffc10, v24
	v_lshl_or_b32 v27, v18, 12, v4
	v_cndmask_b32_e64 v4, 0, 1, vcc
	v_cmp_ne_u32_e32 vcc, 0, v19
	v_lshrrev_b32_e32 v31, v23, v28
	v_lshlrev_b32_e32 v16, v16, v30
	v_lshl_or_b32 v29, v24, 12, v19
	v_cndmask_b32_e64 v19, 0, 1, vcc
	v_lshlrev_b32_e32 v23, v23, v31
	v_cmp_ne_u32_e32 vcc, v16, v26
	v_cndmask_b32_e64 v16, 0, 1, vcc
	v_cmp_ne_u32_e32 vcc, v23, v28
	v_cndmask_b32_e64 v23, 0, 1, vcc
	v_or_b32_e32 v16, v30, v16
	v_cmp_gt_i32_e32 vcc, 1, v18
	v_cndmask_b32_e32 v16, v27, v16, vcc
	v_or_b32_e32 v23, v31, v23
	v_cmp_gt_i32_e32 vcc, 1, v24
	v_and_b32_e32 v26, 7, v16
	v_cndmask_b32_e32 v23, v29, v23, vcc
	v_cmp_lt_i32_e32 vcc, 5, v26
	v_cmp_eq_u32_e64 s[0:1], 3, v26
	v_lshrrev_b32_e32 v16, 2, v16
	v_and_b32_e32 v27, 7, v23
	s_or_b64 vcc, s[0:1], vcc
	v_cmp_lt_i32_e64 s[2:3], 5, v27
	v_cmp_eq_u32_e64 s[4:5], 3, v27
	v_addc_co_u32_e32 v16, vcc, 0, v16, vcc
	v_lshrrev_b32_e32 v23, 2, v23
	s_or_b64 vcc, s[4:5], s[2:3]
	v_addc_co_u32_e32 v23, vcc, 0, v23, vcc
	v_cmp_gt_i32_e32 vcc, 31, v18
	v_cndmask_b32_e32 v16, v7, v16, vcc
	v_cmp_gt_i32_e32 vcc, 31, v24
	v_lshl_or_b32 v4, v4, 9, v7
	v_cndmask_b32_e32 v23, v7, v23, vcc
	v_cmp_eq_u32_e32 vcc, s16, v18
	v_lshrrev_b32_e32 v17, 16, v17
	v_lshl_or_b32 v19, v19, 9, v7
	v_cndmask_b32_e32 v4, v16, v4, vcc
	v_cmp_eq_u32_e32 vcc, s16, v24
	v_lshrrev_b32_e32 v20, 16, v20
	v_cndmask_b32_e32 v16, v23, v19, vcc
	v_and_or_b32 v4, v17, s10, v4
	v_and_or_b32 v16, v20, s10, v16
	v_and_b32_e32 v4, 0xffff, v4
	v_lshl_or_b32 v4, v16, 16, v4
	v_mul_f64 v[16:17], v[21:22], s[14:15]
	v_mov_b32_e32 v18, s13
	v_add_co_u32_e32 v19, vcc, s12, v2
	v_addc_co_u32_e32 v18, vcc, v18, v3, vcc
	v_lshlrev_b64 v[2:3], 2, v[5:6]
	s_mul_hi_u32 s2, s8, 0xd8
	v_add_co_u32_e32 v2, vcc, v19, v2
	v_addc_co_u32_e32 v3, vcc, v18, v3, vcc
	global_store_dword v[2:3], v4, off
	v_and_or_b32 v4, v17, s18, v16
	v_cmp_ne_u32_e32 vcc, 0, v4
	v_cndmask_b32_e64 v4, 0, 1, vcc
	v_lshrrev_b32_e32 v5, 8, v17
	v_and_or_b32 v6, v5, s17, v4
	v_bfe_u32 v5, v17, 20, 11
	v_sub_u32_e32 v16, 0x3f1, v5
	v_or_b32_e32 v4, 0x1000, v6
	v_med3_i32 v16, v16, 0, 13
	v_lshrrev_b32_e32 v18, v16, v4
	v_lshlrev_b32_e32 v16, v16, v18
	v_cmp_ne_u32_e32 vcc, v16, v4
	v_cndmask_b32_e64 v4, 0, 1, vcc
	v_add_u32_e32 v16, 0xfffffc10, v5
	v_or_b32_e32 v4, v18, v4
	v_lshl_or_b32 v5, v16, 12, v6
	v_cmp_gt_i32_e32 vcc, 1, v16
	v_cndmask_b32_e32 v4, v5, v4, vcc
	v_and_b32_e32 v5, 7, v4
	v_cmp_lt_i32_e32 vcc, 5, v5
	v_cmp_eq_u32_e64 s[0:1], 3, v5
	v_lshrrev_b32_e32 v9, 2, v4
	v_cvt_f64_f32_e32 v[4:5], v0
	s_or_b64 vcc, s[0:1], vcc
	v_addc_co_u32_e32 v0, vcc, 0, v9, vcc
	v_mul_f64 v[4:5], v[4:5], s[14:15]
	v_cmp_gt_i32_e32 vcc, 31, v16
	v_cndmask_b32_e32 v0, v7, v0, vcc
	v_cmp_ne_u32_e32 vcc, 0, v6
	v_cndmask_b32_e64 v6, 0, 1, vcc
	v_lshl_or_b32 v6, v6, 9, v7
	v_cmp_eq_u32_e32 vcc, s16, v16
	v_cndmask_b32_e32 v0, v0, v6, vcc
	v_and_or_b32 v4, v5, s18, v4
	v_lshrrev_b32_e32 v6, 16, v17
	v_cmp_ne_u32_e32 vcc, 0, v4
	v_and_or_b32 v0, v6, s10, v0
	v_cndmask_b32_e64 v4, 0, 1, vcc
	v_lshrrev_b32_e32 v6, 8, v5
	v_bfe_u32 v9, v5, 20, 11
	v_and_or_b32 v4, v6, s17, v4
	v_sub_u32_e32 v10, 0x3f1, v9
	v_or_b32_e32 v6, 0x1000, v4
	v_med3_i32 v10, v10, 0, 13
	v_lshrrev_b32_e32 v16, v10, v6
	v_lshlrev_b32_e32 v10, v10, v16
	v_cmp_ne_u32_e32 vcc, v10, v6
	v_cndmask_b32_e64 v6, 0, 1, vcc
	v_add_u32_e32 v9, 0xfffffc10, v9
	v_or_b32_e32 v6, v16, v6
	v_lshl_or_b32 v10, v9, 12, v4
	v_cmp_gt_i32_e32 vcc, 1, v9
	v_cndmask_b32_e32 v6, v10, v6, vcc
	v_and_b32_e32 v10, 7, v6
	v_cmp_lt_i32_e32 vcc, 5, v10
	v_cmp_eq_u32_e64 s[0:1], 3, v10
	v_lshrrev_b32_e32 v6, 2, v6
	s_or_b64 vcc, s[0:1], vcc
	v_addc_co_u32_e32 v6, vcc, 0, v6, vcc
	v_cmp_gt_i32_e32 vcc, 31, v9
	v_cndmask_b32_e32 v6, v7, v6, vcc
	v_cmp_ne_u32_e32 vcc, 0, v4
	v_cndmask_b32_e64 v4, 0, 1, vcc
	v_lshl_or_b32 v4, v4, 9, v7
	v_cmp_eq_u32_e32 vcc, s16, v9
	v_cndmask_b32_e32 v4, v6, v4, vcc
	v_lshrrev_b32_e32 v6, 16, v1
	s_waitcnt vmcnt(6)
	v_mul_f16_sdwa v9, v6, v11 dst_sel:DWORD dst_unused:UNUSED_PAD src0_sel:DWORD src1_sel:WORD_1
	v_fma_f16 v9, v1, v11, v9
	v_cvt_f32_f16_e32 v9, v9
	v_lshrrev_b32_e32 v5, 16, v5
	v_and_or_b32 v4, v5, s10, v4
	v_and_b32_e32 v0, 0xffff, v0
	v_lshl_or_b32 v0, v4, 16, v0
	v_cvt_f64_f32_e32 v[4:5], v9
	s_mul_i32 s0, s9, 0xd8
	s_add_i32 s2, s2, s0
	s_mul_i32 s3, s8, 0xd8
	v_mul_f64 v[4:5], v[4:5], s[14:15]
	v_mov_b32_e32 v9, s2
	v_add_co_u32_e32 v2, vcc, s3, v2
	v_addc_co_u32_e32 v3, vcc, v3, v9, vcc
	global_store_dword v[2:3], v0, off
	v_mul_f16_sdwa v1, v1, v11 dst_sel:DWORD dst_unused:UNUSED_PAD src0_sel:DWORD src1_sel:WORD_1
	v_and_or_b32 v0, v5, s18, v4
	v_cmp_ne_u32_e32 vcc, 0, v0
	v_cndmask_b32_e64 v0, 0, 1, vcc
	v_lshrrev_b32_e32 v4, 8, v5
	v_bfe_u32 v9, v5, 20, 11
	v_and_or_b32 v4, v4, s17, v0
	v_sub_u32_e32 v10, 0x3f1, v9
	v_or_b32_e32 v0, 0x1000, v4
	v_med3_i32 v10, v10, 0, 13
	v_lshrrev_b32_e32 v16, v10, v0
	v_lshlrev_b32_e32 v10, v10, v16
	v_fma_f16 v1, v11, v6, -v1
	v_cmp_ne_u32_e32 vcc, v10, v0
	v_cvt_f32_f16_e32 v1, v1
	v_cndmask_b32_e64 v0, 0, 1, vcc
	v_add_u32_e32 v9, 0xfffffc10, v9
	v_or_b32_e32 v0, v16, v0
	v_lshl_or_b32 v10, v9, 12, v4
	v_cmp_gt_i32_e32 vcc, 1, v9
	v_cndmask_b32_e32 v0, v10, v0, vcc
	v_and_b32_e32 v10, 7, v0
	v_lshrrev_b32_e32 v6, 2, v0
	v_cvt_f64_f32_e32 v[0:1], v1
	v_cmp_lt_i32_e32 vcc, 5, v10
	v_cmp_eq_u32_e64 s[0:1], 3, v10
	s_or_b64 vcc, s[0:1], vcc
	v_mul_f64 v[0:1], v[0:1], s[14:15]
	v_addc_co_u32_e32 v6, vcc, 0, v6, vcc
	v_cmp_gt_i32_e32 vcc, 31, v9
	v_cndmask_b32_e32 v6, v7, v6, vcc
	v_cmp_ne_u32_e32 vcc, 0, v4
	v_cndmask_b32_e64 v4, 0, 1, vcc
	v_lshl_or_b32 v4, v4, 9, v7
	v_cmp_eq_u32_e32 vcc, s16, v9
	v_and_or_b32 v0, v1, s18, v0
	v_cndmask_b32_e32 v4, v6, v4, vcc
	v_lshrrev_b32_e32 v5, 16, v5
	v_cmp_ne_u32_e32 vcc, 0, v0
	v_and_or_b32 v6, v5, s10, v4
	v_cndmask_b32_e64 v0, 0, 1, vcc
	v_lshrrev_b32_e32 v4, 8, v1
	v_bfe_u32 v5, v1, 20, 11
	v_and_or_b32 v0, v4, s17, v0
	v_sub_u32_e32 v9, 0x3f1, v5
	v_or_b32_e32 v4, 0x1000, v0
	v_med3_i32 v9, v9, 0, 13
	v_lshrrev_b32_e32 v10, v9, v4
	v_lshlrev_b32_e32 v9, v9, v10
	v_cmp_ne_u32_e32 vcc, v9, v4
	v_cndmask_b32_e64 v4, 0, 1, vcc
	v_add_u32_e32 v9, 0xfffffc10, v5
	v_or_b32_e32 v4, v10, v4
	v_lshl_or_b32 v5, v9, 12, v0
	v_cmp_gt_i32_e32 vcc, 1, v9
	v_cndmask_b32_e32 v4, v5, v4, vcc
	v_and_b32_e32 v5, 7, v4
	v_cmp_lt_i32_e32 vcc, 5, v5
	v_cmp_eq_u32_e64 s[0:1], 3, v5
	v_lshrrev_b32_e32 v4, 2, v4
	s_or_b64 vcc, s[0:1], vcc
	v_addc_co_u32_e32 v10, vcc, 0, v4, vcc
	ds_read2_b32 v[4:5], v25 offset0:162 offset1:216
	v_cmp_gt_i32_e32 vcc, 31, v9
	v_cndmask_b32_e32 v10, v7, v10, vcc
	v_cmp_ne_u32_e32 vcc, 0, v0
	v_cndmask_b32_e64 v0, 0, 1, vcc
	s_waitcnt lgkmcnt(0)
	v_lshrrev_b32_e32 v11, 16, v4
	s_waitcnt vmcnt(6)
	v_mul_f16_sdwa v16, v11, v12 dst_sel:DWORD dst_unused:UNUSED_PAD src0_sel:DWORD src1_sel:WORD_1
	v_fma_f16 v16, v4, v12, v16
	v_cvt_f32_f16_e32 v16, v16
	v_lshl_or_b32 v0, v0, 9, v7
	v_cmp_eq_u32_e32 vcc, s16, v9
	v_cndmask_b32_e32 v0, v10, v0, vcc
	v_cvt_f64_f32_e32 v[9:10], v16
	v_lshrrev_b32_e32 v1, 16, v1
	v_and_or_b32 v16, v1, s10, v0
	v_add_co_u32_e32 v2, vcc, s3, v2
	v_mul_f64 v[0:1], v[9:10], s[14:15]
	v_mov_b32_e32 v9, s2
	v_and_b32_e32 v6, 0xffff, v6
	v_addc_co_u32_e32 v3, vcc, v3, v9, vcc
	v_lshl_or_b32 v6, v16, 16, v6
	global_store_dword v[2:3], v6, off
	v_mul_f16_sdwa v4, v4, v12 dst_sel:DWORD dst_unused:UNUSED_PAD src0_sel:DWORD src1_sel:WORD_1
	v_and_or_b32 v0, v1, s18, v0
	v_cmp_ne_u32_e32 vcc, 0, v0
	v_cndmask_b32_e64 v0, 0, 1, vcc
	v_lshrrev_b32_e32 v6, 8, v1
	v_bfe_u32 v9, v1, 20, 11
	v_and_or_b32 v0, v6, s17, v0
	v_sub_u32_e32 v10, 0x3f1, v9
	v_or_b32_e32 v6, 0x1000, v0
	v_med3_i32 v10, v10, 0, 13
	v_lshrrev_b32_e32 v16, v10, v6
	v_lshlrev_b32_e32 v10, v10, v16
	v_cmp_ne_u32_e32 vcc, v10, v6
	v_cndmask_b32_e64 v6, 0, 1, vcc
	v_fma_f16 v4, v12, v11, -v4
	v_or_b32_e32 v6, v16, v6
	v_add_u32_e32 v16, 0xfffffc10, v9
	v_cvt_f32_f16_e32 v4, v4
	v_lshl_or_b32 v9, v16, 12, v0
	v_cmp_gt_i32_e32 vcc, 1, v16
	v_cndmask_b32_e32 v6, v9, v6, vcc
	v_and_b32_e32 v9, 7, v6
	v_cmp_lt_i32_e32 vcc, 5, v9
	v_cmp_eq_u32_e64 s[0:1], 3, v9
	v_cvt_f64_f32_e32 v[9:10], v4
	v_lshrrev_b32_e32 v6, 2, v6
	s_or_b64 vcc, s[0:1], vcc
	v_addc_co_u32_e32 v4, vcc, 0, v6, vcc
	v_mul_f64 v[9:10], v[9:10], s[14:15]
	v_cmp_gt_i32_e32 vcc, 31, v16
	v_cndmask_b32_e32 v4, v7, v4, vcc
	v_cmp_ne_u32_e32 vcc, 0, v0
	v_cndmask_b32_e64 v0, 0, 1, vcc
	v_lshl_or_b32 v0, v0, 9, v7
	v_cmp_eq_u32_e32 vcc, s16, v16
	v_cndmask_b32_e32 v0, v4, v0, vcc
	v_lshrrev_b32_e32 v1, 16, v1
	v_and_or_b32 v4, v1, s10, v0
	v_and_or_b32 v0, v10, s18, v9
	v_cmp_ne_u32_e32 vcc, 0, v0
	v_cndmask_b32_e64 v0, 0, 1, vcc
	v_lshrrev_b32_e32 v1, 8, v10
	v_bfe_u32 v6, v10, 20, 11
	v_and_or_b32 v0, v1, s17, v0
	v_sub_u32_e32 v9, 0x3f1, v6
	v_or_b32_e32 v1, 0x1000, v0
	v_med3_i32 v9, v9, 0, 13
	v_lshrrev_b32_e32 v11, v9, v1
	v_lshlrev_b32_e32 v9, v9, v11
	v_cmp_ne_u32_e32 vcc, v9, v1
	v_cndmask_b32_e64 v1, 0, 1, vcc
	v_add_u32_e32 v6, 0xfffffc10, v6
	v_or_b32_e32 v1, v11, v1
	v_lshl_or_b32 v9, v6, 12, v0
	v_cmp_gt_i32_e32 vcc, 1, v6
	v_cndmask_b32_e32 v1, v9, v1, vcc
	v_and_b32_e32 v9, 7, v1
	v_cmp_lt_i32_e32 vcc, 5, v9
	v_cmp_eq_u32_e64 s[0:1], 3, v9
	v_lshrrev_b32_e32 v9, 16, v5
	v_lshrrev_b32_e32 v1, 2, v1
	s_or_b64 vcc, s[0:1], vcc
	s_waitcnt vmcnt(6)
	v_mul_f16_sdwa v11, v9, v13 dst_sel:DWORD dst_unused:UNUSED_PAD src0_sel:DWORD src1_sel:WORD_1
	v_addc_co_u32_e32 v1, vcc, 0, v1, vcc
	v_fma_f16 v11, v5, v13, v11
	v_cmp_gt_i32_e32 vcc, 31, v6
	v_cvt_f32_f16_e32 v11, v11
	v_cndmask_b32_e32 v1, v7, v1, vcc
	v_cmp_ne_u32_e32 vcc, 0, v0
	v_cndmask_b32_e64 v0, 0, 1, vcc
	v_lshl_or_b32 v0, v0, 9, v7
	v_cmp_eq_u32_e32 vcc, s16, v6
	v_cndmask_b32_e32 v6, v1, v0, vcc
	v_cvt_f64_f32_e32 v[0:1], v11
	v_lshrrev_b32_e32 v10, 16, v10
	v_and_or_b32 v6, v10, s10, v6
	v_and_b32_e32 v4, 0xffff, v4
	v_mul_f64 v[0:1], v[0:1], s[14:15]
	v_lshl_or_b32 v4, v6, 16, v4
	v_mov_b32_e32 v6, s2
	v_add_co_u32_e32 v2, vcc, s3, v2
	v_addc_co_u32_e32 v3, vcc, v3, v6, vcc
	global_store_dword v[2:3], v4, off
	v_and_or_b32 v0, v1, s18, v0
	v_cmp_ne_u32_e32 vcc, 0, v0
	v_cndmask_b32_e64 v0, 0, 1, vcc
	v_lshrrev_b32_e32 v4, 8, v1
	v_bfe_u32 v6, v1, 20, 11
	v_and_or_b32 v0, v4, s17, v0
	v_sub_u32_e32 v10, 0x3f1, v6
	v_or_b32_e32 v4, 0x1000, v0
	v_med3_i32 v10, v10, 0, 13
	v_lshrrev_b32_e32 v11, v10, v4
	v_mul_f16_sdwa v5, v5, v13 dst_sel:DWORD dst_unused:UNUSED_PAD src0_sel:DWORD src1_sel:WORD_1
	v_lshlrev_b32_e32 v10, v10, v11
	v_fma_f16 v5, v13, v9, -v5
	v_cmp_ne_u32_e32 vcc, v10, v4
	v_cvt_f32_f16_e32 v5, v5
	v_cndmask_b32_e64 v4, 0, 1, vcc
	v_add_u32_e32 v6, 0xfffffc10, v6
	v_or_b32_e32 v4, v11, v4
	v_lshl_or_b32 v10, v6, 12, v0
	v_cmp_gt_i32_e32 vcc, 1, v6
	v_cndmask_b32_e32 v4, v10, v4, vcc
	v_and_b32_e32 v10, 7, v4
	v_lshrrev_b32_e32 v9, 2, v4
	v_cvt_f64_f32_e32 v[4:5], v5
	v_cmp_lt_i32_e32 vcc, 5, v10
	v_cmp_eq_u32_e64 s[0:1], 3, v10
	s_or_b64 vcc, s[0:1], vcc
	v_mul_f64 v[4:5], v[4:5], s[14:15]
	v_addc_co_u32_e32 v9, vcc, 0, v9, vcc
	v_cmp_gt_i32_e32 vcc, 31, v6
	v_cndmask_b32_e32 v9, v7, v9, vcc
	v_cmp_ne_u32_e32 vcc, 0, v0
	v_cndmask_b32_e64 v0, 0, 1, vcc
	v_lshl_or_b32 v0, v0, 9, v7
	v_cmp_eq_u32_e32 vcc, s16, v6
	v_cndmask_b32_e32 v0, v9, v0, vcc
	v_lshrrev_b32_e32 v1, 16, v1
	v_and_or_b32 v6, v1, s10, v0
	v_and_or_b32 v0, v5, s18, v4
	v_cmp_ne_u32_e32 vcc, 0, v0
	v_cndmask_b32_e64 v0, 0, 1, vcc
	v_lshrrev_b32_e32 v1, 8, v5
	v_and_or_b32 v4, v1, s17, v0
	v_bfe_u32 v1, v5, 20, 11
	v_sub_u32_e32 v9, 0x3f1, v1
	v_or_b32_e32 v0, 0x1000, v4
	v_med3_i32 v9, v9, 0, 13
	v_lshrrev_b32_e32 v10, v9, v0
	v_lshlrev_b32_e32 v9, v9, v10
	v_cmp_ne_u32_e32 vcc, v9, v0
	v_cndmask_b32_e64 v0, 0, 1, vcc
	v_add_u32_e32 v9, 0xfffffc10, v1
	v_or_b32_e32 v0, v10, v0
	v_lshl_or_b32 v1, v9, 12, v4
	v_cmp_gt_i32_e32 vcc, 1, v9
	v_cndmask_b32_e32 v0, v1, v0, vcc
	v_and_b32_e32 v1, 7, v0
	v_cmp_lt_i32_e32 vcc, 5, v1
	v_cmp_eq_u32_e64 s[0:1], 3, v1
	v_lshrrev_b32_e32 v0, 2, v0
	s_or_b64 vcc, s[0:1], vcc
	v_add_u32_e32 v11, 0x400, v25
	v_addc_co_u32_e32 v10, vcc, 0, v0, vcc
	ds_read2_b32 v[0:1], v11 offset0:14 offset1:68
	v_cmp_gt_i32_e32 vcc, 31, v9
	v_cndmask_b32_e32 v10, v7, v10, vcc
	v_cmp_ne_u32_e32 vcc, 0, v4
	v_cndmask_b32_e64 v4, 0, 1, vcc
	s_waitcnt lgkmcnt(0)
	v_lshrrev_b32_e32 v12, 16, v0
	s_waitcnt vmcnt(6)
	v_mul_f16_sdwa v13, v12, v14 dst_sel:DWORD dst_unused:UNUSED_PAD src0_sel:DWORD src1_sel:WORD_1
	v_fma_f16 v13, v0, v14, v13
	v_cvt_f32_f16_e32 v13, v13
	v_lshl_or_b32 v4, v4, 9, v7
	v_cmp_eq_u32_e32 vcc, s16, v9
	v_cndmask_b32_e32 v4, v10, v4, vcc
	v_cvt_f64_f32_e32 v[9:10], v13
	v_lshrrev_b32_e32 v5, 16, v5
	v_and_or_b32 v13, v5, s10, v4
	v_add_co_u32_e32 v2, vcc, s3, v2
	v_mul_f64 v[4:5], v[9:10], s[14:15]
	v_mov_b32_e32 v9, s2
	v_and_b32_e32 v6, 0xffff, v6
	v_addc_co_u32_e32 v3, vcc, v3, v9, vcc
	v_lshl_or_b32 v6, v13, 16, v6
	global_store_dword v[2:3], v6, off
	v_mul_f16_sdwa v0, v0, v14 dst_sel:DWORD dst_unused:UNUSED_PAD src0_sel:DWORD src1_sel:WORD_1
	v_and_or_b32 v4, v5, s18, v4
	v_cmp_ne_u32_e32 vcc, 0, v4
	v_cndmask_b32_e64 v4, 0, 1, vcc
	v_lshrrev_b32_e32 v6, 8, v5
	v_bfe_u32 v9, v5, 20, 11
	v_and_or_b32 v4, v6, s17, v4
	v_sub_u32_e32 v10, 0x3f1, v9
	v_or_b32_e32 v6, 0x1000, v4
	v_med3_i32 v10, v10, 0, 13
	v_lshrrev_b32_e32 v13, v10, v6
	v_lshlrev_b32_e32 v10, v10, v13
	v_cmp_ne_u32_e32 vcc, v10, v6
	v_cndmask_b32_e64 v6, 0, 1, vcc
	v_fma_f16 v0, v14, v12, -v0
	v_or_b32_e32 v6, v13, v6
	v_add_u32_e32 v13, 0xfffffc10, v9
	v_cvt_f32_f16_e32 v0, v0
	v_lshl_or_b32 v9, v13, 12, v4
	v_cmp_gt_i32_e32 vcc, 1, v13
	v_cndmask_b32_e32 v6, v9, v6, vcc
	v_and_b32_e32 v9, 7, v6
	v_cmp_lt_i32_e32 vcc, 5, v9
	v_cmp_eq_u32_e64 s[0:1], 3, v9
	v_cvt_f64_f32_e32 v[9:10], v0
	v_lshrrev_b32_e32 v6, 2, v6
	s_or_b64 vcc, s[0:1], vcc
	v_addc_co_u32_e32 v0, vcc, 0, v6, vcc
	v_mul_f64 v[9:10], v[9:10], s[14:15]
	v_cmp_gt_i32_e32 vcc, 31, v13
	v_cndmask_b32_e32 v0, v7, v0, vcc
	v_cmp_ne_u32_e32 vcc, 0, v4
	v_cndmask_b32_e64 v4, 0, 1, vcc
	v_lshl_or_b32 v4, v4, 9, v7
	v_cmp_eq_u32_e32 vcc, s16, v13
	v_cndmask_b32_e32 v0, v0, v4, vcc
	v_lshrrev_b32_e32 v4, 16, v5
	v_and_or_b32 v0, v4, s10, v0
	v_and_or_b32 v4, v10, s18, v9
	v_cmp_ne_u32_e32 vcc, 0, v4
	v_cndmask_b32_e64 v4, 0, 1, vcc
	v_lshrrev_b32_e32 v5, 8, v10
	v_bfe_u32 v6, v10, 20, 11
	v_and_or_b32 v4, v5, s17, v4
	v_sub_u32_e32 v9, 0x3f1, v6
	v_or_b32_e32 v5, 0x1000, v4
	v_med3_i32 v9, v9, 0, 13
	v_lshrrev_b32_e32 v12, v9, v5
	v_lshlrev_b32_e32 v9, v9, v12
	v_cmp_ne_u32_e32 vcc, v9, v5
	v_cndmask_b32_e64 v5, 0, 1, vcc
	v_add_u32_e32 v6, 0xfffffc10, v6
	v_or_b32_e32 v5, v12, v5
	v_lshl_or_b32 v9, v6, 12, v4
	v_cmp_gt_i32_e32 vcc, 1, v6
	v_cndmask_b32_e32 v5, v9, v5, vcc
	v_and_b32_e32 v9, 7, v5
	v_cmp_lt_i32_e32 vcc, 5, v9
	v_cmp_eq_u32_e64 s[0:1], 3, v9
	v_lshrrev_b32_e32 v9, 16, v1
	v_lshrrev_b32_e32 v5, 2, v5
	s_or_b64 vcc, s[0:1], vcc
	s_waitcnt vmcnt(6)
	v_mul_f16_sdwa v12, v9, v15 dst_sel:DWORD dst_unused:UNUSED_PAD src0_sel:DWORD src1_sel:WORD_1
	v_addc_co_u32_e32 v5, vcc, 0, v5, vcc
	v_fma_f16 v12, v1, v15, v12
	v_cmp_gt_i32_e32 vcc, 31, v6
	v_cvt_f32_f16_e32 v12, v12
	v_cndmask_b32_e32 v5, v7, v5, vcc
	v_cmp_ne_u32_e32 vcc, 0, v4
	v_cndmask_b32_e64 v4, 0, 1, vcc
	v_lshl_or_b32 v4, v4, 9, v7
	v_cmp_eq_u32_e32 vcc, s16, v6
	v_cndmask_b32_e32 v6, v5, v4, vcc
	v_cvt_f64_f32_e32 v[4:5], v12
	v_lshrrev_b32_e32 v10, 16, v10
	v_and_or_b32 v6, v10, s10, v6
	v_and_b32_e32 v0, 0xffff, v0
	v_mul_f64 v[4:5], v[4:5], s[14:15]
	v_lshl_or_b32 v0, v6, 16, v0
	v_mov_b32_e32 v6, s2
	v_add_co_u32_e32 v2, vcc, s3, v2
	v_addc_co_u32_e32 v3, vcc, v3, v6, vcc
	global_store_dword v[2:3], v0, off
	v_and_or_b32 v0, v5, s18, v4
	v_cmp_ne_u32_e32 vcc, 0, v0
	v_cndmask_b32_e64 v0, 0, 1, vcc
	v_lshrrev_b32_e32 v4, 8, v5
	v_bfe_u32 v6, v5, 20, 11
	v_and_or_b32 v4, v4, s17, v0
	v_sub_u32_e32 v10, 0x3f1, v6
	v_or_b32_e32 v0, 0x1000, v4
	v_med3_i32 v10, v10, 0, 13
	v_lshrrev_b32_e32 v12, v10, v0
	v_mul_f16_sdwa v1, v1, v15 dst_sel:DWORD dst_unused:UNUSED_PAD src0_sel:DWORD src1_sel:WORD_1
	v_lshlrev_b32_e32 v10, v10, v12
	v_fma_f16 v1, v15, v9, -v1
	v_cmp_ne_u32_e32 vcc, v10, v0
	v_cvt_f32_f16_e32 v1, v1
	v_cndmask_b32_e64 v0, 0, 1, vcc
	v_add_u32_e32 v6, 0xfffffc10, v6
	v_or_b32_e32 v0, v12, v0
	v_lshl_or_b32 v10, v6, 12, v4
	v_cmp_gt_i32_e32 vcc, 1, v6
	v_cndmask_b32_e32 v0, v10, v0, vcc
	v_and_b32_e32 v10, 7, v0
	v_lshrrev_b32_e32 v9, 2, v0
	v_cvt_f64_f32_e32 v[0:1], v1
	v_cmp_lt_i32_e32 vcc, 5, v10
	v_cmp_eq_u32_e64 s[0:1], 3, v10
	s_or_b64 vcc, s[0:1], vcc
	v_mul_f64 v[0:1], v[0:1], s[14:15]
	v_addc_co_u32_e32 v9, vcc, 0, v9, vcc
	v_cmp_gt_i32_e32 vcc, 31, v6
	v_cndmask_b32_e32 v9, v7, v9, vcc
	v_cmp_ne_u32_e32 vcc, 0, v4
	v_cndmask_b32_e64 v4, 0, 1, vcc
	v_lshl_or_b32 v4, v4, 9, v7
	v_cmp_eq_u32_e32 vcc, s16, v6
	v_and_or_b32 v0, v1, s18, v0
	v_cndmask_b32_e32 v4, v9, v4, vcc
	v_lshrrev_b32_e32 v5, 16, v5
	v_cmp_ne_u32_e32 vcc, 0, v0
	v_and_or_b32 v6, v5, s10, v4
	v_cndmask_b32_e64 v0, 0, 1, vcc
	v_lshrrev_b32_e32 v4, 8, v1
	v_bfe_u32 v5, v1, 20, 11
	v_and_or_b32 v0, v4, s17, v0
	v_sub_u32_e32 v9, 0x3f1, v5
	v_or_b32_e32 v4, 0x1000, v0
	v_med3_i32 v9, v9, 0, 13
	v_lshrrev_b32_e32 v10, v9, v4
	v_lshlrev_b32_e32 v9, v9, v10
	v_cmp_ne_u32_e32 vcc, v9, v4
	v_cndmask_b32_e64 v4, 0, 1, vcc
	v_add_u32_e32 v9, 0xfffffc10, v5
	v_or_b32_e32 v4, v10, v4
	v_lshl_or_b32 v5, v9, 12, v0
	v_cmp_gt_i32_e32 vcc, 1, v9
	v_cndmask_b32_e32 v4, v5, v4, vcc
	v_and_b32_e32 v5, 7, v4
	v_cmp_lt_i32_e32 vcc, 5, v5
	v_cmp_eq_u32_e64 s[0:1], 3, v5
	v_lshrrev_b32_e32 v4, 2, v4
	s_or_b64 vcc, s[0:1], vcc
	v_addc_co_u32_e32 v10, vcc, 0, v4, vcc
	ds_read2_b32 v[4:5], v11 offset0:122 offset1:176
	v_cmp_gt_i32_e32 vcc, 31, v9
	v_cndmask_b32_e32 v10, v7, v10, vcc
	v_cmp_ne_u32_e32 vcc, 0, v0
	v_cndmask_b32_e64 v0, 0, 1, vcc
	s_waitcnt lgkmcnt(0)
	v_lshrrev_b32_e32 v11, 16, v4
	s_waitcnt vmcnt(6)
	v_mul_f16_sdwa v12, v11, v8 dst_sel:DWORD dst_unused:UNUSED_PAD src0_sel:DWORD src1_sel:WORD_1
	v_fma_f16 v12, v4, v8, v12
	v_cvt_f32_f16_e32 v12, v12
	v_lshl_or_b32 v0, v0, 9, v7
	v_cmp_eq_u32_e32 vcc, s16, v9
	v_cndmask_b32_e32 v0, v10, v0, vcc
	v_cvt_f64_f32_e32 v[9:10], v12
	v_lshrrev_b32_e32 v1, 16, v1
	v_and_or_b32 v12, v1, s10, v0
	v_add_co_u32_e32 v2, vcc, s3, v2
	v_mul_f64 v[0:1], v[9:10], s[14:15]
	global_load_dword v10, v25, s[6:7] offset:1728
	v_mov_b32_e32 v9, s2
	v_and_b32_e32 v6, 0xffff, v6
	v_addc_co_u32_e32 v3, vcc, v3, v9, vcc
	v_lshl_or_b32 v6, v12, 16, v6
	global_store_dword v[2:3], v6, off
	v_and_or_b32 v0, v1, s18, v0
	v_cmp_ne_u32_e32 vcc, 0, v0
	v_cndmask_b32_e64 v0, 0, 1, vcc
	v_lshrrev_b32_e32 v6, 8, v1
	v_bfe_u32 v9, v1, 20, 11
	v_and_or_b32 v0, v6, s17, v0
	v_sub_u32_e32 v12, 0x3f1, v9
	v_or_b32_e32 v6, 0x1000, v0
	v_med3_i32 v12, v12, 0, 13
	v_lshrrev_b32_e32 v13, v12, v6
	v_lshlrev_b32_e32 v12, v12, v13
	v_mul_f16_sdwa v4, v4, v8 dst_sel:DWORD dst_unused:UNUSED_PAD src0_sel:DWORD src1_sel:WORD_1
	v_cmp_ne_u32_e32 vcc, v12, v6
	v_fma_f16 v4, v8, v11, -v4
	v_cndmask_b32_e64 v6, 0, 1, vcc
	v_add_u32_e32 v12, 0xfffffc10, v9
	v_cvt_f32_f16_e32 v4, v4
	v_or_b32_e32 v6, v13, v6
	v_lshl_or_b32 v9, v12, 12, v0
	v_cmp_gt_i32_e32 vcc, 1, v12
	v_cndmask_b32_e32 v6, v9, v6, vcc
	v_and_b32_e32 v9, 7, v6
	v_cmp_lt_i32_e32 vcc, 5, v9
	v_cmp_eq_u32_e64 s[0:1], 3, v9
	v_cvt_f64_f32_e32 v[8:9], v4
	v_lshrrev_b32_e32 v6, 2, v6
	s_or_b64 vcc, s[0:1], vcc
	v_addc_co_u32_e32 v4, vcc, 0, v6, vcc
	v_mul_f64 v[8:9], v[8:9], s[14:15]
	v_cmp_gt_i32_e32 vcc, 31, v12
	v_cndmask_b32_e32 v4, v7, v4, vcc
	v_cmp_ne_u32_e32 vcc, 0, v0
	v_cndmask_b32_e64 v0, 0, 1, vcc
	v_lshl_or_b32 v0, v0, 9, v7
	v_cmp_eq_u32_e32 vcc, s16, v12
	v_cndmask_b32_e32 v0, v4, v0, vcc
	v_lshrrev_b32_e32 v1, 16, v1
	v_and_or_b32 v4, v1, s10, v0
	v_and_or_b32 v0, v9, s18, v8
	v_cmp_ne_u32_e32 vcc, 0, v0
	v_cndmask_b32_e64 v0, 0, 1, vcc
	v_lshrrev_b32_e32 v1, 8, v9
	v_bfe_u32 v6, v9, 20, 11
	v_and_or_b32 v0, v1, s17, v0
	v_sub_u32_e32 v8, 0x3f1, v6
	v_or_b32_e32 v1, 0x1000, v0
	v_med3_i32 v8, v8, 0, 13
	v_lshrrev_b32_e32 v11, v8, v1
	v_lshlrev_b32_e32 v8, v8, v11
	v_cmp_ne_u32_e32 vcc, v8, v1
	v_cndmask_b32_e64 v1, 0, 1, vcc
	v_or_b32_e32 v1, v11, v1
	global_load_dword v11, v25, s[6:7] offset:1944
	global_load_dword v12, v25, s[6:7] offset:2160
	;; [unrolled: 1-line block ×3, first 2 shown]
	v_add_u32_e32 v6, 0xfffffc10, v6
	v_lshl_or_b32 v8, v6, 12, v0
	v_cmp_gt_i32_e32 vcc, 1, v6
	v_cndmask_b32_e32 v1, v8, v1, vcc
	v_and_b32_e32 v8, 7, v1
	v_cmp_lt_i32_e32 vcc, 5, v8
	v_cmp_eq_u32_e64 s[0:1], 3, v8
	v_lshrrev_b32_e32 v8, 16, v5
	v_lshrrev_b32_e32 v1, 2, v1
	s_or_b64 vcc, s[0:1], vcc
	v_addc_co_u32_e32 v1, vcc, 0, v1, vcc
	v_cmp_gt_i32_e32 vcc, 31, v6
	v_cndmask_b32_e32 v1, v7, v1, vcc
	v_cmp_ne_u32_e32 vcc, 0, v0
	v_cndmask_b32_e64 v0, 0, 1, vcc
	v_lshl_or_b32 v0, v0, 9, v7
	v_cmp_eq_u32_e32 vcc, s16, v6
	v_cndmask_b32_e32 v6, v1, v0, vcc
	s_waitcnt vmcnt(4)
	v_mul_f16_sdwa v14, v8, v10 dst_sel:DWORD dst_unused:UNUSED_PAD src0_sel:DWORD src1_sel:WORD_1
	v_fma_f16 v14, v5, v10, v14
	v_cvt_f32_f16_e32 v14, v14
	v_lshrrev_b32_e32 v9, 16, v9
	v_and_or_b32 v6, v9, s10, v6
	v_and_b32_e32 v4, 0xffff, v4
	v_cvt_f64_f32_e32 v[0:1], v14
	v_lshl_or_b32 v4, v6, 16, v4
	v_mov_b32_e32 v6, s2
	v_add_co_u32_e32 v2, vcc, s3, v2
	v_mul_f64 v[0:1], v[0:1], s[14:15]
	v_addc_co_u32_e32 v3, vcc, v3, v6, vcc
	global_store_dword v[2:3], v4, off
	v_mul_f16_sdwa v5, v5, v10 dst_sel:DWORD dst_unused:UNUSED_PAD src0_sel:DWORD src1_sel:WORD_1
	v_fma_f16 v5, v10, v8, -v5
	v_cvt_f32_f16_e32 v5, v5
	v_and_or_b32 v0, v1, s18, v0
	v_cmp_ne_u32_e32 vcc, 0, v0
	v_cndmask_b32_e64 v0, 0, 1, vcc
	v_lshrrev_b32_e32 v4, 8, v1
	v_bfe_u32 v6, v1, 20, 11
	v_and_or_b32 v0, v4, s17, v0
	v_sub_u32_e32 v9, 0x3f1, v6
	v_or_b32_e32 v4, 0x1000, v0
	v_med3_i32 v9, v9, 0, 13
	v_lshrrev_b32_e32 v14, v9, v4
	v_lshlrev_b32_e32 v9, v9, v14
	v_cmp_ne_u32_e32 vcc, v9, v4
	v_cndmask_b32_e64 v4, 0, 1, vcc
	v_add_u32_e32 v6, 0xfffffc10, v6
	v_or_b32_e32 v4, v14, v4
	v_lshl_or_b32 v9, v6, 12, v0
	v_cmp_gt_i32_e32 vcc, 1, v6
	v_cndmask_b32_e32 v4, v9, v4, vcc
	v_and_b32_e32 v9, 7, v4
	v_lshrrev_b32_e32 v8, 2, v4
	v_cvt_f64_f32_e32 v[4:5], v5
	v_cmp_lt_i32_e32 vcc, 5, v9
	v_cmp_eq_u32_e64 s[0:1], 3, v9
	s_or_b64 vcc, s[0:1], vcc
	v_mul_f64 v[4:5], v[4:5], s[14:15]
	v_addc_co_u32_e32 v8, vcc, 0, v8, vcc
	v_cmp_gt_i32_e32 vcc, 31, v6
	v_cndmask_b32_e32 v8, v7, v8, vcc
	v_cmp_ne_u32_e32 vcc, 0, v0
	v_cndmask_b32_e64 v0, 0, 1, vcc
	v_lshl_or_b32 v0, v0, 9, v7
	v_cmp_eq_u32_e32 vcc, s16, v6
	v_cndmask_b32_e32 v0, v8, v0, vcc
	v_lshrrev_b32_e32 v1, 16, v1
	v_and_or_b32 v6, v1, s10, v0
	v_and_or_b32 v0, v5, s18, v4
	v_cmp_ne_u32_e32 vcc, 0, v0
	v_cndmask_b32_e64 v0, 0, 1, vcc
	v_lshrrev_b32_e32 v1, 8, v5
	v_and_or_b32 v4, v1, s17, v0
	v_bfe_u32 v1, v5, 20, 11
	v_sub_u32_e32 v8, 0x3f1, v1
	v_or_b32_e32 v0, 0x1000, v4
	v_med3_i32 v8, v8, 0, 13
	v_lshrrev_b32_e32 v9, v8, v0
	v_lshlrev_b32_e32 v8, v8, v9
	v_cmp_ne_u32_e32 vcc, v8, v0
	v_cndmask_b32_e64 v0, 0, 1, vcc
	v_add_u32_e32 v8, 0xfffffc10, v1
	v_or_b32_e32 v0, v9, v0
	v_lshl_or_b32 v1, v8, 12, v4
	v_cmp_gt_i32_e32 vcc, 1, v8
	v_cndmask_b32_e32 v0, v1, v0, vcc
	v_and_b32_e32 v1, 7, v0
	v_cmp_lt_i32_e32 vcc, 5, v1
	v_cmp_eq_u32_e64 s[0:1], 3, v1
	v_lshrrev_b32_e32 v0, 2, v0
	s_or_b64 vcc, s[0:1], vcc
	v_addc_co_u32_e32 v9, vcc, 0, v0, vcc
	v_add_u32_e32 v0, 0x600, v25
	ds_read2_b32 v[0:1], v0 offset0:102 offset1:156
	v_cmp_gt_i32_e32 vcc, 31, v8
	v_cndmask_b32_e32 v9, v7, v9, vcc
	v_cmp_ne_u32_e32 vcc, 0, v4
	v_cndmask_b32_e64 v4, 0, 1, vcc
	s_waitcnt lgkmcnt(0)
	v_lshrrev_b32_e32 v10, 16, v0
	s_waitcnt vmcnt(3)
	v_mul_f16_sdwa v14, v10, v11 dst_sel:DWORD dst_unused:UNUSED_PAD src0_sel:DWORD src1_sel:WORD_1
	v_fma_f16 v14, v0, v11, v14
	v_cvt_f32_f16_e32 v14, v14
	v_lshl_or_b32 v4, v4, 9, v7
	v_cmp_eq_u32_e32 vcc, s16, v8
	v_cndmask_b32_e32 v4, v9, v4, vcc
	v_cvt_f64_f32_e32 v[8:9], v14
	v_lshrrev_b32_e32 v5, 16, v5
	v_and_or_b32 v14, v5, s10, v4
	v_add_co_u32_e32 v2, vcc, s3, v2
	v_mul_f64 v[4:5], v[8:9], s[14:15]
	v_mov_b32_e32 v8, s2
	v_and_b32_e32 v6, 0xffff, v6
	v_addc_co_u32_e32 v3, vcc, v3, v8, vcc
	v_lshl_or_b32 v6, v14, 16, v6
	global_store_dword v[2:3], v6, off
	v_mul_f16_sdwa v0, v0, v11 dst_sel:DWORD dst_unused:UNUSED_PAD src0_sel:DWORD src1_sel:WORD_1
	v_and_or_b32 v4, v5, s18, v4
	v_cmp_ne_u32_e32 vcc, 0, v4
	v_cndmask_b32_e64 v4, 0, 1, vcc
	v_lshrrev_b32_e32 v6, 8, v5
	v_bfe_u32 v8, v5, 20, 11
	v_and_or_b32 v4, v6, s17, v4
	v_sub_u32_e32 v9, 0x3f1, v8
	v_or_b32_e32 v6, 0x1000, v4
	v_med3_i32 v9, v9, 0, 13
	v_lshrrev_b32_e32 v14, v9, v6
	v_lshlrev_b32_e32 v9, v9, v14
	v_cmp_ne_u32_e32 vcc, v9, v6
	v_cndmask_b32_e64 v6, 0, 1, vcc
	v_fma_f16 v0, v11, v10, -v0
	v_or_b32_e32 v6, v14, v6
	v_add_u32_e32 v14, 0xfffffc10, v8
	v_cvt_f32_f16_e32 v0, v0
	v_lshl_or_b32 v8, v14, 12, v4
	v_cmp_gt_i32_e32 vcc, 1, v14
	v_cndmask_b32_e32 v6, v8, v6, vcc
	v_and_b32_e32 v8, 7, v6
	v_cmp_lt_i32_e32 vcc, 5, v8
	v_cmp_eq_u32_e64 s[0:1], 3, v8
	v_cvt_f64_f32_e32 v[8:9], v0
	v_lshrrev_b32_e32 v6, 2, v6
	s_or_b64 vcc, s[0:1], vcc
	v_addc_co_u32_e32 v0, vcc, 0, v6, vcc
	v_mul_f64 v[8:9], v[8:9], s[14:15]
	v_cmp_gt_i32_e32 vcc, 31, v14
	v_cndmask_b32_e32 v0, v7, v0, vcc
	v_cmp_ne_u32_e32 vcc, 0, v4
	v_cndmask_b32_e64 v4, 0, 1, vcc
	v_lshl_or_b32 v4, v4, 9, v7
	v_cmp_eq_u32_e32 vcc, s16, v14
	v_cndmask_b32_e32 v0, v0, v4, vcc
	v_lshrrev_b32_e32 v4, 16, v5
	v_and_or_b32 v0, v4, s10, v0
	v_and_or_b32 v4, v9, s18, v8
	v_cmp_ne_u32_e32 vcc, 0, v4
	v_cndmask_b32_e64 v4, 0, 1, vcc
	v_lshrrev_b32_e32 v5, 8, v9
	v_bfe_u32 v6, v9, 20, 11
	v_and_or_b32 v4, v5, s17, v4
	v_sub_u32_e32 v8, 0x3f1, v6
	v_or_b32_e32 v5, 0x1000, v4
	v_med3_i32 v8, v8, 0, 13
	v_lshrrev_b32_e32 v10, v8, v5
	v_lshlrev_b32_e32 v8, v8, v10
	v_cmp_ne_u32_e32 vcc, v8, v5
	v_cndmask_b32_e64 v5, 0, 1, vcc
	v_add_u32_e32 v6, 0xfffffc10, v6
	v_or_b32_e32 v5, v10, v5
	v_lshl_or_b32 v8, v6, 12, v4
	v_cmp_gt_i32_e32 vcc, 1, v6
	v_cndmask_b32_e32 v5, v8, v5, vcc
	v_and_b32_e32 v8, 7, v5
	v_cmp_lt_i32_e32 vcc, 5, v8
	v_cmp_eq_u32_e64 s[0:1], 3, v8
	v_lshrrev_b32_e32 v8, 16, v1
	v_lshrrev_b32_e32 v5, 2, v5
	s_or_b64 vcc, s[0:1], vcc
	s_waitcnt vmcnt(3)
	v_mul_f16_sdwa v10, v8, v12 dst_sel:DWORD dst_unused:UNUSED_PAD src0_sel:DWORD src1_sel:WORD_1
	v_addc_co_u32_e32 v5, vcc, 0, v5, vcc
	v_fma_f16 v10, v1, v12, v10
	v_cmp_gt_i32_e32 vcc, 31, v6
	v_cvt_f32_f16_e32 v10, v10
	v_cndmask_b32_e32 v5, v7, v5, vcc
	v_cmp_ne_u32_e32 vcc, 0, v4
	v_cndmask_b32_e64 v4, 0, 1, vcc
	v_lshl_or_b32 v4, v4, 9, v7
	v_cmp_eq_u32_e32 vcc, s16, v6
	v_cndmask_b32_e32 v6, v5, v4, vcc
	v_cvt_f64_f32_e32 v[4:5], v10
	v_lshrrev_b32_e32 v9, 16, v9
	v_and_or_b32 v6, v9, s10, v6
	v_and_b32_e32 v0, 0xffff, v0
	v_mul_f64 v[4:5], v[4:5], s[14:15]
	v_lshl_or_b32 v0, v6, 16, v0
	v_mov_b32_e32 v6, s2
	v_add_co_u32_e32 v2, vcc, s3, v2
	v_addc_co_u32_e32 v3, vcc, v3, v6, vcc
	global_store_dword v[2:3], v0, off
	v_and_or_b32 v0, v5, s18, v4
	v_cmp_ne_u32_e32 vcc, 0, v0
	v_cndmask_b32_e64 v0, 0, 1, vcc
	v_lshrrev_b32_e32 v4, 8, v5
	v_bfe_u32 v6, v5, 20, 11
	v_and_or_b32 v4, v4, s17, v0
	v_sub_u32_e32 v9, 0x3f1, v6
	v_or_b32_e32 v0, 0x1000, v4
	v_med3_i32 v9, v9, 0, 13
	v_lshrrev_b32_e32 v10, v9, v0
	v_mul_f16_sdwa v1, v1, v12 dst_sel:DWORD dst_unused:UNUSED_PAD src0_sel:DWORD src1_sel:WORD_1
	v_lshlrev_b32_e32 v9, v9, v10
	v_fma_f16 v1, v12, v8, -v1
	v_cmp_ne_u32_e32 vcc, v9, v0
	v_cvt_f32_f16_e32 v1, v1
	v_cndmask_b32_e64 v0, 0, 1, vcc
	v_add_u32_e32 v6, 0xfffffc10, v6
	v_or_b32_e32 v0, v10, v0
	v_lshl_or_b32 v9, v6, 12, v4
	v_cmp_gt_i32_e32 vcc, 1, v6
	v_cndmask_b32_e32 v0, v9, v0, vcc
	v_and_b32_e32 v9, 7, v0
	v_lshrrev_b32_e32 v8, 2, v0
	v_cvt_f64_f32_e32 v[0:1], v1
	v_cmp_lt_i32_e32 vcc, 5, v9
	v_cmp_eq_u32_e64 s[0:1], 3, v9
	s_or_b64 vcc, s[0:1], vcc
	v_mul_f64 v[0:1], v[0:1], s[14:15]
	v_addc_co_u32_e32 v8, vcc, 0, v8, vcc
	v_cmp_gt_i32_e32 vcc, 31, v6
	v_cndmask_b32_e32 v8, v7, v8, vcc
	v_cmp_ne_u32_e32 vcc, 0, v4
	v_cndmask_b32_e64 v4, 0, 1, vcc
	v_lshl_or_b32 v4, v4, 9, v7
	v_cmp_eq_u32_e32 vcc, s16, v6
	v_and_or_b32 v0, v1, s18, v0
	v_cndmask_b32_e32 v4, v8, v4, vcc
	v_lshrrev_b32_e32 v5, 16, v5
	v_cmp_ne_u32_e32 vcc, 0, v0
	v_and_or_b32 v6, v5, s10, v4
	v_cndmask_b32_e64 v0, 0, 1, vcc
	v_lshrrev_b32_e32 v4, 8, v1
	v_bfe_u32 v5, v1, 20, 11
	v_and_or_b32 v0, v4, s17, v0
	v_sub_u32_e32 v8, 0x3f1, v5
	v_or_b32_e32 v4, 0x1000, v0
	v_med3_i32 v8, v8, 0, 13
	v_lshrrev_b32_e32 v9, v8, v4
	v_lshlrev_b32_e32 v8, v8, v9
	v_cmp_ne_u32_e32 vcc, v8, v4
	v_cndmask_b32_e64 v4, 0, 1, vcc
	v_add_u32_e32 v8, 0xfffffc10, v5
	v_or_b32_e32 v4, v9, v4
	v_lshl_or_b32 v5, v8, 12, v0
	v_cmp_gt_i32_e32 vcc, 1, v8
	v_cndmask_b32_e32 v4, v5, v4, vcc
	v_and_b32_e32 v5, 7, v4
	v_cmp_lt_i32_e32 vcc, 5, v5
	v_cmp_eq_u32_e64 s[0:1], 3, v5
	v_lshrrev_b32_e32 v4, 2, v4
	s_or_b64 vcc, s[0:1], vcc
	v_addc_co_u32_e32 v9, vcc, 0, v4, vcc
	v_add_u32_e32 v4, 0x800, v25
	ds_read2_b32 v[4:5], v4 offset0:82 offset1:136
	v_cmp_gt_i32_e32 vcc, 31, v8
	v_cndmask_b32_e32 v9, v7, v9, vcc
	v_cmp_ne_u32_e32 vcc, 0, v0
	v_cndmask_b32_e64 v0, 0, 1, vcc
	s_waitcnt lgkmcnt(0)
	v_lshrrev_b32_e32 v10, 16, v4
	s_waitcnt vmcnt(3)
	v_mul_f16_sdwa v11, v10, v13 dst_sel:DWORD dst_unused:UNUSED_PAD src0_sel:DWORD src1_sel:WORD_1
	v_fma_f16 v11, v4, v13, v11
	v_cvt_f32_f16_e32 v11, v11
	v_lshl_or_b32 v0, v0, 9, v7
	v_cmp_eq_u32_e32 vcc, s16, v8
	v_cndmask_b32_e32 v0, v9, v0, vcc
	v_cvt_f64_f32_e32 v[8:9], v11
	v_lshrrev_b32_e32 v1, 16, v1
	v_and_or_b32 v11, v1, s10, v0
	v_add_co_u32_e32 v2, vcc, s3, v2
	v_mul_f64 v[0:1], v[8:9], s[14:15]
	v_mov_b32_e32 v8, s2
	v_and_b32_e32 v6, 0xffff, v6
	v_addc_co_u32_e32 v3, vcc, v3, v8, vcc
	v_lshl_or_b32 v6, v11, 16, v6
	global_store_dword v[2:3], v6, off
	v_mul_f16_sdwa v4, v4, v13 dst_sel:DWORD dst_unused:UNUSED_PAD src0_sel:DWORD src1_sel:WORD_1
	v_and_or_b32 v0, v1, s18, v0
	v_cmp_ne_u32_e32 vcc, 0, v0
	v_cndmask_b32_e64 v0, 0, 1, vcc
	v_lshrrev_b32_e32 v6, 8, v1
	v_bfe_u32 v8, v1, 20, 11
	v_and_or_b32 v0, v6, s17, v0
	v_sub_u32_e32 v9, 0x3f1, v8
	v_or_b32_e32 v6, 0x1000, v0
	v_med3_i32 v9, v9, 0, 13
	v_lshrrev_b32_e32 v11, v9, v6
	v_lshlrev_b32_e32 v9, v9, v11
	v_cmp_ne_u32_e32 vcc, v9, v6
	v_cndmask_b32_e64 v6, 0, 1, vcc
	v_fma_f16 v4, v13, v10, -v4
	v_or_b32_e32 v6, v11, v6
	v_add_u32_e32 v11, 0xfffffc10, v8
	v_cvt_f32_f16_e32 v4, v4
	v_lshl_or_b32 v8, v11, 12, v0
	v_cmp_gt_i32_e32 vcc, 1, v11
	v_cndmask_b32_e32 v6, v8, v6, vcc
	v_and_b32_e32 v8, 7, v6
	v_cmp_lt_i32_e32 vcc, 5, v8
	v_cmp_eq_u32_e64 s[0:1], 3, v8
	v_cvt_f64_f32_e32 v[8:9], v4
	v_lshrrev_b32_e32 v6, 2, v6
	s_or_b64 vcc, s[0:1], vcc
	v_addc_co_u32_e32 v4, vcc, 0, v6, vcc
	v_mul_f64 v[8:9], v[8:9], s[14:15]
	v_cmp_gt_i32_e32 vcc, 31, v11
	v_cndmask_b32_e32 v4, v7, v4, vcc
	v_cmp_ne_u32_e32 vcc, 0, v0
	v_cndmask_b32_e64 v0, 0, 1, vcc
	v_lshl_or_b32 v0, v0, 9, v7
	v_cmp_eq_u32_e32 vcc, s16, v11
	v_cndmask_b32_e32 v0, v4, v0, vcc
	v_lshrrev_b32_e32 v1, 16, v1
	v_and_or_b32 v0, v1, s10, v0
	v_and_or_b32 v1, v9, s18, v8
	v_cmp_ne_u32_e32 vcc, 0, v1
	v_cndmask_b32_e64 v1, 0, 1, vcc
	v_lshrrev_b32_e32 v4, 8, v9
	v_bfe_u32 v6, v9, 20, 11
	v_and_or_b32 v1, v4, s17, v1
	v_sub_u32_e32 v8, 0x3f1, v6
	v_or_b32_e32 v4, 0x1000, v1
	v_med3_i32 v8, v8, 0, 13
	v_lshrrev_b32_e32 v10, v8, v4
	v_lshlrev_b32_e32 v8, v8, v10
	v_cmp_ne_u32_e32 vcc, v8, v4
	v_cndmask_b32_e64 v4, 0, 1, vcc
	v_add_u32_e32 v6, 0xfffffc10, v6
	v_or_b32_e32 v4, v10, v4
	v_lshl_or_b32 v8, v6, 12, v1
	v_cmp_gt_i32_e32 vcc, 1, v6
	v_cndmask_b32_e32 v4, v8, v4, vcc
	v_and_b32_e32 v8, 7, v4
	v_cmp_lt_i32_e32 vcc, 5, v8
	v_cmp_eq_u32_e64 s[0:1], 3, v8
	v_lshrrev_b32_e32 v4, 2, v4
	s_or_b64 vcc, s[0:1], vcc
	v_addc_co_u32_e32 v4, vcc, 0, v4, vcc
	v_cmp_gt_i32_e32 vcc, 31, v6
	v_cndmask_b32_e32 v4, v7, v4, vcc
	v_cmp_ne_u32_e32 vcc, 0, v1
	v_cndmask_b32_e64 v1, 0, 1, vcc
	v_lshl_or_b32 v1, v1, 9, v7
	v_cmp_eq_u32_e32 vcc, s16, v6
	v_cndmask_b32_e32 v1, v4, v1, vcc
	v_lshrrev_b32_e32 v4, 16, v9
	v_and_or_b32 v1, v4, s10, v1
	v_and_b32_e32 v0, 0xffff, v0
	v_lshl_or_b32 v4, v1, 16, v0
	v_mov_b32_e32 v1, s2
	v_add_co_u32_e32 v0, vcc, s3, v2
	v_addc_co_u32_e32 v1, vcc, v3, v1, vcc
	global_store_dword v[0:1], v4, off
	global_load_dword v4, v25, s[6:7] offset:2592
	v_lshrrev_b32_e32 v6, 16, v5
	s_waitcnt vmcnt(0)
	v_mul_f16_sdwa v2, v6, v4 dst_sel:DWORD dst_unused:UNUSED_PAD src0_sel:DWORD src1_sel:WORD_1
	v_fma_f16 v2, v5, v4, v2
	v_cvt_f32_f16_e32 v2, v2
	v_mul_f16_sdwa v5, v5, v4 dst_sel:DWORD dst_unused:UNUSED_PAD src0_sel:DWORD src1_sel:WORD_1
	v_fma_f16 v4, v4, v6, -v5
	v_cvt_f32_f16_e32 v4, v4
	v_cvt_f64_f32_e32 v[2:3], v2
	v_cvt_f64_f32_e32 v[4:5], v4
	v_mul_f64 v[2:3], v[2:3], s[14:15]
	v_mul_f64 v[4:5], v[4:5], s[14:15]
	v_and_or_b32 v2, v3, s18, v2
	v_cmp_ne_u32_e32 vcc, 0, v2
	v_cndmask_b32_e64 v2, 0, 1, vcc
	v_lshrrev_b32_e32 v8, 8, v3
	v_bfe_u32 v9, v3, 20, 11
	v_and_or_b32 v2, v8, s17, v2
	v_sub_u32_e32 v10, 0x3f1, v9
	v_or_b32_e32 v8, 0x1000, v2
	v_med3_i32 v10, v10, 0, 13
	v_lshrrev_b32_e32 v11, v10, v8
	v_lshlrev_b32_e32 v10, v10, v11
	v_cmp_ne_u32_e32 vcc, v10, v8
	v_cndmask_b32_e64 v8, 0, 1, vcc
	v_add_u32_e32 v9, 0xfffffc10, v9
	v_or_b32_e32 v8, v11, v8
	v_lshl_or_b32 v10, v9, 12, v2
	v_cmp_gt_i32_e32 vcc, 1, v9
	v_cndmask_b32_e32 v8, v10, v8, vcc
	v_and_b32_e32 v10, 7, v8
	v_cmp_lt_i32_e32 vcc, 5, v10
	v_cmp_eq_u32_e64 s[0:1], 3, v10
	v_lshrrev_b32_e32 v6, 2, v8
	s_or_b64 vcc, s[0:1], vcc
	v_addc_co_u32_e32 v6, vcc, 0, v6, vcc
	v_cmp_gt_i32_e32 vcc, 31, v9
	v_cndmask_b32_e32 v6, v7, v6, vcc
	v_cmp_ne_u32_e32 vcc, 0, v2
	v_cndmask_b32_e64 v2, 0, 1, vcc
	v_lshl_or_b32 v2, v2, 9, v7
	v_cmp_eq_u32_e32 vcc, s16, v9
	v_cndmask_b32_e32 v2, v6, v2, vcc
	v_lshrrev_b32_e32 v3, 16, v3
	v_and_or_b32 v2, v3, s10, v2
	v_and_or_b32 v3, v5, s18, v4
	v_cmp_ne_u32_e32 vcc, 0, v3
	v_cndmask_b32_e64 v3, 0, 1, vcc
	v_lshrrev_b32_e32 v4, 8, v5
	v_bfe_u32 v6, v5, 20, 11
	v_and_or_b32 v3, v4, s17, v3
	v_sub_u32_e32 v8, 0x3f1, v6
	v_or_b32_e32 v4, 0x1000, v3
	v_med3_i32 v8, v8, 0, 13
	v_lshrrev_b32_e32 v9, v8, v4
	v_lshlrev_b32_e32 v8, v8, v9
	v_cmp_ne_u32_e32 vcc, v8, v4
	v_cndmask_b32_e64 v4, 0, 1, vcc
	v_add_u32_e32 v6, 0xfffffc10, v6
	v_or_b32_e32 v4, v9, v4
	v_lshl_or_b32 v8, v6, 12, v3
	v_cmp_gt_i32_e32 vcc, 1, v6
	v_cndmask_b32_e32 v4, v8, v4, vcc
	v_and_b32_e32 v8, 7, v4
	v_cmp_lt_i32_e32 vcc, 5, v8
	v_cmp_eq_u32_e64 s[0:1], 3, v8
	v_lshrrev_b32_e32 v4, 2, v4
	s_or_b64 vcc, s[0:1], vcc
	v_addc_co_u32_e32 v4, vcc, 0, v4, vcc
	v_cmp_gt_i32_e32 vcc, 31, v6
	v_cndmask_b32_e32 v4, v7, v4, vcc
	v_cmp_ne_u32_e32 vcc, 0, v3
	v_cndmask_b32_e64 v3, 0, 1, vcc
	v_lshl_or_b32 v3, v3, 9, v7
	v_cmp_eq_u32_e32 vcc, s16, v6
	v_cndmask_b32_e32 v3, v4, v3, vcc
	v_lshrrev_b32_e32 v4, 16, v5
	v_and_or_b32 v3, v4, s10, v3
	v_and_b32_e32 v2, 0xffff, v2
	v_lshl_or_b32 v2, v3, 16, v2
	v_mov_b32_e32 v3, s2
	v_add_co_u32_e32 v0, vcc, s3, v0
	v_addc_co_u32_e32 v1, vcc, v1, v3, vcc
	global_store_dword v[0:1], v2, off
.LBB0_15:
	s_endpgm
	.section	.rodata,"a",@progbits
	.p2align	6, 0x0
	.amdhsa_kernel bluestein_single_fwd_len702_dim1_half_op_CI_CI
		.amdhsa_group_segment_fixed_size 2808
		.amdhsa_private_segment_fixed_size 0
		.amdhsa_kernarg_size 104
		.amdhsa_user_sgpr_count 6
		.amdhsa_user_sgpr_private_segment_buffer 1
		.amdhsa_user_sgpr_dispatch_ptr 0
		.amdhsa_user_sgpr_queue_ptr 0
		.amdhsa_user_sgpr_kernarg_segment_ptr 1
		.amdhsa_user_sgpr_dispatch_id 0
		.amdhsa_user_sgpr_flat_scratch_init 0
		.amdhsa_user_sgpr_private_segment_size 0
		.amdhsa_uses_dynamic_stack 0
		.amdhsa_system_sgpr_private_segment_wavefront_offset 0
		.amdhsa_system_sgpr_workgroup_id_x 1
		.amdhsa_system_sgpr_workgroup_id_y 0
		.amdhsa_system_sgpr_workgroup_id_z 0
		.amdhsa_system_sgpr_workgroup_info 0
		.amdhsa_system_vgpr_workitem_id 0
		.amdhsa_next_free_vgpr 137
		.amdhsa_next_free_sgpr 30
		.amdhsa_reserve_vcc 1
		.amdhsa_reserve_flat_scratch 0
		.amdhsa_float_round_mode_32 0
		.amdhsa_float_round_mode_16_64 0
		.amdhsa_float_denorm_mode_32 3
		.amdhsa_float_denorm_mode_16_64 3
		.amdhsa_dx10_clamp 1
		.amdhsa_ieee_mode 1
		.amdhsa_fp16_overflow 0
		.amdhsa_exception_fp_ieee_invalid_op 0
		.amdhsa_exception_fp_denorm_src 0
		.amdhsa_exception_fp_ieee_div_zero 0
		.amdhsa_exception_fp_ieee_overflow 0
		.amdhsa_exception_fp_ieee_underflow 0
		.amdhsa_exception_fp_ieee_inexact 0
		.amdhsa_exception_int_div_zero 0
	.end_amdhsa_kernel
	.text
.Lfunc_end0:
	.size	bluestein_single_fwd_len702_dim1_half_op_CI_CI, .Lfunc_end0-bluestein_single_fwd_len702_dim1_half_op_CI_CI
                                        ; -- End function
	.section	.AMDGPU.csdata,"",@progbits
; Kernel info:
; codeLenInByte = 18576
; NumSgprs: 34
; NumVgprs: 137
; ScratchSize: 0
; MemoryBound: 0
; FloatMode: 240
; IeeeMode: 1
; LDSByteSize: 2808 bytes/workgroup (compile time only)
; SGPRBlocks: 4
; VGPRBlocks: 34
; NumSGPRsForWavesPerEU: 34
; NumVGPRsForWavesPerEU: 137
; Occupancy: 1
; WaveLimiterHint : 1
; COMPUTE_PGM_RSRC2:SCRATCH_EN: 0
; COMPUTE_PGM_RSRC2:USER_SGPR: 6
; COMPUTE_PGM_RSRC2:TRAP_HANDLER: 0
; COMPUTE_PGM_RSRC2:TGID_X_EN: 1
; COMPUTE_PGM_RSRC2:TGID_Y_EN: 0
; COMPUTE_PGM_RSRC2:TGID_Z_EN: 0
; COMPUTE_PGM_RSRC2:TIDIG_COMP_CNT: 0
	.type	__hip_cuid_6e9cff8797b4729f,@object ; @__hip_cuid_6e9cff8797b4729f
	.section	.bss,"aw",@nobits
	.globl	__hip_cuid_6e9cff8797b4729f
__hip_cuid_6e9cff8797b4729f:
	.byte	0                               ; 0x0
	.size	__hip_cuid_6e9cff8797b4729f, 1

	.ident	"AMD clang version 19.0.0git (https://github.com/RadeonOpenCompute/llvm-project roc-6.4.0 25133 c7fe45cf4b819c5991fe208aaa96edf142730f1d)"
	.section	".note.GNU-stack","",@progbits
	.addrsig
	.addrsig_sym __hip_cuid_6e9cff8797b4729f
	.amdgpu_metadata
---
amdhsa.kernels:
  - .args:
      - .actual_access:  read_only
        .address_space:  global
        .offset:         0
        .size:           8
        .value_kind:     global_buffer
      - .actual_access:  read_only
        .address_space:  global
        .offset:         8
        .size:           8
        .value_kind:     global_buffer
      - .actual_access:  read_only
        .address_space:  global
        .offset:         16
        .size:           8
        .value_kind:     global_buffer
      - .actual_access:  read_only
        .address_space:  global
        .offset:         24
        .size:           8
        .value_kind:     global_buffer
      - .actual_access:  read_only
        .address_space:  global
        .offset:         32
        .size:           8
        .value_kind:     global_buffer
      - .offset:         40
        .size:           8
        .value_kind:     by_value
      - .address_space:  global
        .offset:         48
        .size:           8
        .value_kind:     global_buffer
      - .address_space:  global
        .offset:         56
        .size:           8
        .value_kind:     global_buffer
      - .address_space:  global
        .offset:         64
        .size:           8
        .value_kind:     global_buffer
      - .address_space:  global
        .offset:         72
        .size:           8
        .value_kind:     global_buffer
      - .offset:         80
        .size:           4
        .value_kind:     by_value
      - .address_space:  global
        .offset:         88
        .size:           8
        .value_kind:     global_buffer
      - .address_space:  global
        .offset:         96
        .size:           8
        .value_kind:     global_buffer
    .group_segment_fixed_size: 2808
    .kernarg_segment_align: 8
    .kernarg_segment_size: 104
    .language:       OpenCL C
    .language_version:
      - 2
      - 0
    .max_flat_workgroup_size: 117
    .name:           bluestein_single_fwd_len702_dim1_half_op_CI_CI
    .private_segment_fixed_size: 0
    .sgpr_count:     34
    .sgpr_spill_count: 0
    .symbol:         bluestein_single_fwd_len702_dim1_half_op_CI_CI.kd
    .uniform_work_group_size: 1
    .uses_dynamic_stack: false
    .vgpr_count:     137
    .vgpr_spill_count: 0
    .wavefront_size: 64
amdhsa.target:   amdgcn-amd-amdhsa--gfx906
amdhsa.version:
  - 1
  - 2
...

	.end_amdgpu_metadata
